;; amdgpu-corpus repo=ROCm/rocFFT kind=compiled arch=gfx906 opt=O3
	.text
	.amdgcn_target "amdgcn-amd-amdhsa--gfx906"
	.amdhsa_code_object_version 6
	.protected	fft_rtc_fwd_len1666_factors_17_2_7_7_wgs_119_tpt_119_halfLds_dp_op_CI_CI_sbrr_dirReg ; -- Begin function fft_rtc_fwd_len1666_factors_17_2_7_7_wgs_119_tpt_119_halfLds_dp_op_CI_CI_sbrr_dirReg
	.globl	fft_rtc_fwd_len1666_factors_17_2_7_7_wgs_119_tpt_119_halfLds_dp_op_CI_CI_sbrr_dirReg
	.p2align	8
	.type	fft_rtc_fwd_len1666_factors_17_2_7_7_wgs_119_tpt_119_halfLds_dp_op_CI_CI_sbrr_dirReg,@function
fft_rtc_fwd_len1666_factors_17_2_7_7_wgs_119_tpt_119_halfLds_dp_op_CI_CI_sbrr_dirReg: ; @fft_rtc_fwd_len1666_factors_17_2_7_7_wgs_119_tpt_119_halfLds_dp_op_CI_CI_sbrr_dirReg
; %bb.0:
	s_load_dwordx4 s[16:19], s[4:5], 0x18
	s_load_dwordx4 s[12:15], s[4:5], 0x0
	;; [unrolled: 1-line block ×3, first 2 shown]
	v_mul_u32_u24_e32 v1, 0x227, v0
	v_add_u32_sdwa v6, s6, v1 dst_sel:DWORD dst_unused:UNUSED_PAD src0_sel:DWORD src1_sel:WORD_1
	s_waitcnt lgkmcnt(0)
	s_load_dwordx2 s[22:23], s[16:17], 0x0
	s_load_dwordx2 s[20:21], s[18:19], 0x0
	v_cmp_lt_u64_e64 s[0:1], s[14:15], 2
	v_mov_b32_e32 v1, 0
	v_mov_b32_e32 v4, 0
	;; [unrolled: 1-line block ×3, first 2 shown]
	s_and_b64 vcc, exec, s[0:1]
	v_mov_b32_e32 v5, 0
	s_cbranch_vccnz .LBB0_8
; %bb.1:
	s_load_dwordx2 s[0:1], s[4:5], 0x10
	s_add_u32 s2, s18, 8
	s_addc_u32 s3, s19, 0
	s_add_u32 s6, s16, 8
	v_mov_b32_e32 v4, 0
	s_addc_u32 s7, s17, 0
	v_mov_b32_e32 v5, 0
	s_waitcnt lgkmcnt(0)
	s_add_u32 s24, s0, 8
	v_mov_b32_e32 v97, v5
	s_addc_u32 s25, s1, 0
	s_mov_b64 s[26:27], 1
	v_mov_b32_e32 v96, v4
.LBB0_2:                                ; =>This Inner Loop Header: Depth=1
	s_load_dwordx2 s[28:29], s[24:25], 0x0
                                        ; implicit-def: $vgpr98_vgpr99
	s_waitcnt lgkmcnt(0)
	v_or_b32_e32 v2, s29, v7
	v_cmp_ne_u64_e32 vcc, 0, v[1:2]
	s_and_saveexec_b64 s[0:1], vcc
	s_xor_b64 s[30:31], exec, s[0:1]
	s_cbranch_execz .LBB0_4
; %bb.3:                                ;   in Loop: Header=BB0_2 Depth=1
	v_cvt_f32_u32_e32 v2, s28
	v_cvt_f32_u32_e32 v3, s29
	s_sub_u32 s0, 0, s28
	s_subb_u32 s1, 0, s29
	v_mac_f32_e32 v2, 0x4f800000, v3
	v_rcp_f32_e32 v2, v2
	v_mul_f32_e32 v2, 0x5f7ffffc, v2
	v_mul_f32_e32 v3, 0x2f800000, v2
	v_trunc_f32_e32 v3, v3
	v_mac_f32_e32 v2, 0xcf800000, v3
	v_cvt_u32_f32_e32 v3, v3
	v_cvt_u32_f32_e32 v2, v2
	v_mul_lo_u32 v8, s0, v3
	v_mul_hi_u32 v9, s0, v2
	v_mul_lo_u32 v11, s1, v2
	v_mul_lo_u32 v10, s0, v2
	v_add_u32_e32 v8, v9, v8
	v_add_u32_e32 v8, v8, v11
	v_mul_hi_u32 v9, v2, v10
	v_mul_lo_u32 v11, v2, v8
	v_mul_hi_u32 v13, v2, v8
	v_mul_hi_u32 v12, v3, v10
	v_mul_lo_u32 v10, v3, v10
	v_mul_hi_u32 v14, v3, v8
	v_add_co_u32_e32 v9, vcc, v9, v11
	v_addc_co_u32_e32 v11, vcc, 0, v13, vcc
	v_mul_lo_u32 v8, v3, v8
	v_add_co_u32_e32 v9, vcc, v9, v10
	v_addc_co_u32_e32 v9, vcc, v11, v12, vcc
	v_addc_co_u32_e32 v10, vcc, 0, v14, vcc
	v_add_co_u32_e32 v8, vcc, v9, v8
	v_addc_co_u32_e32 v9, vcc, 0, v10, vcc
	v_add_co_u32_e32 v2, vcc, v2, v8
	v_addc_co_u32_e32 v3, vcc, v3, v9, vcc
	v_mul_lo_u32 v8, s0, v3
	v_mul_hi_u32 v9, s0, v2
	v_mul_lo_u32 v10, s1, v2
	v_mul_lo_u32 v11, s0, v2
	v_add_u32_e32 v8, v9, v8
	v_add_u32_e32 v8, v8, v10
	v_mul_lo_u32 v12, v2, v8
	v_mul_hi_u32 v13, v2, v11
	v_mul_hi_u32 v14, v2, v8
	;; [unrolled: 1-line block ×3, first 2 shown]
	v_mul_lo_u32 v11, v3, v11
	v_mul_hi_u32 v9, v3, v8
	v_add_co_u32_e32 v12, vcc, v13, v12
	v_addc_co_u32_e32 v13, vcc, 0, v14, vcc
	v_mul_lo_u32 v8, v3, v8
	v_add_co_u32_e32 v11, vcc, v12, v11
	v_addc_co_u32_e32 v10, vcc, v13, v10, vcc
	v_addc_co_u32_e32 v9, vcc, 0, v9, vcc
	v_add_co_u32_e32 v8, vcc, v10, v8
	v_addc_co_u32_e32 v9, vcc, 0, v9, vcc
	v_add_co_u32_e32 v8, vcc, v2, v8
	v_addc_co_u32_e32 v9, vcc, v3, v9, vcc
	v_mad_u64_u32 v[2:3], s[0:1], v6, v9, 0
	v_mul_hi_u32 v10, v6, v8
	v_add_co_u32_e32 v10, vcc, v10, v2
	v_addc_co_u32_e32 v11, vcc, 0, v3, vcc
	v_mad_u64_u32 v[2:3], s[0:1], v7, v8, 0
	v_mad_u64_u32 v[8:9], s[0:1], v7, v9, 0
	v_add_co_u32_e32 v2, vcc, v10, v2
	v_addc_co_u32_e32 v2, vcc, v11, v3, vcc
	v_addc_co_u32_e32 v3, vcc, 0, v9, vcc
	v_add_co_u32_e32 v8, vcc, v2, v8
	v_addc_co_u32_e32 v9, vcc, 0, v3, vcc
	v_mul_lo_u32 v10, s29, v8
	v_mul_lo_u32 v11, s28, v9
	v_mad_u64_u32 v[2:3], s[0:1], s28, v8, 0
	v_add3_u32 v3, v3, v11, v10
	v_sub_u32_e32 v10, v7, v3
	v_mov_b32_e32 v11, s29
	v_sub_co_u32_e32 v2, vcc, v6, v2
	v_subb_co_u32_e64 v10, s[0:1], v10, v11, vcc
	v_subrev_co_u32_e64 v11, s[0:1], s28, v2
	v_subbrev_co_u32_e64 v10, s[0:1], 0, v10, s[0:1]
	v_cmp_le_u32_e64 s[0:1], s29, v10
	v_cndmask_b32_e64 v12, 0, -1, s[0:1]
	v_cmp_le_u32_e64 s[0:1], s28, v11
	v_cndmask_b32_e64 v11, 0, -1, s[0:1]
	v_cmp_eq_u32_e64 s[0:1], s29, v10
	v_cndmask_b32_e64 v10, v12, v11, s[0:1]
	v_add_co_u32_e64 v11, s[0:1], 2, v8
	v_addc_co_u32_e64 v12, s[0:1], 0, v9, s[0:1]
	v_add_co_u32_e64 v13, s[0:1], 1, v8
	v_addc_co_u32_e64 v14, s[0:1], 0, v9, s[0:1]
	v_subb_co_u32_e32 v3, vcc, v7, v3, vcc
	v_cmp_ne_u32_e64 s[0:1], 0, v10
	v_cmp_le_u32_e32 vcc, s29, v3
	v_cndmask_b32_e64 v10, v14, v12, s[0:1]
	v_cndmask_b32_e64 v12, 0, -1, vcc
	v_cmp_le_u32_e32 vcc, s28, v2
	v_cndmask_b32_e64 v2, 0, -1, vcc
	v_cmp_eq_u32_e32 vcc, s29, v3
	v_cndmask_b32_e32 v2, v12, v2, vcc
	v_cmp_ne_u32_e32 vcc, 0, v2
	v_cndmask_b32_e64 v2, v13, v11, s[0:1]
	v_cndmask_b32_e32 v99, v9, v10, vcc
	v_cndmask_b32_e32 v98, v8, v2, vcc
.LBB0_4:                                ;   in Loop: Header=BB0_2 Depth=1
	s_andn2_saveexec_b64 s[0:1], s[30:31]
	s_cbranch_execz .LBB0_6
; %bb.5:                                ;   in Loop: Header=BB0_2 Depth=1
	v_cvt_f32_u32_e32 v2, s28
	s_sub_i32 s30, 0, s28
	v_mov_b32_e32 v99, v1
	v_rcp_iflag_f32_e32 v2, v2
	v_mul_f32_e32 v2, 0x4f7ffffe, v2
	v_cvt_u32_f32_e32 v2, v2
	v_mul_lo_u32 v3, s30, v2
	v_mul_hi_u32 v3, v2, v3
	v_add_u32_e32 v2, v2, v3
	v_mul_hi_u32 v2, v6, v2
	v_mul_lo_u32 v3, v2, s28
	v_add_u32_e32 v8, 1, v2
	v_sub_u32_e32 v3, v6, v3
	v_subrev_u32_e32 v9, s28, v3
	v_cmp_le_u32_e32 vcc, s28, v3
	v_cndmask_b32_e32 v3, v3, v9, vcc
	v_cndmask_b32_e32 v2, v2, v8, vcc
	v_add_u32_e32 v8, 1, v2
	v_cmp_le_u32_e32 vcc, s28, v3
	v_cndmask_b32_e32 v98, v2, v8, vcc
.LBB0_6:                                ;   in Loop: Header=BB0_2 Depth=1
	s_or_b64 exec, exec, s[0:1]
	v_mul_lo_u32 v8, v99, s28
	v_mul_lo_u32 v9, v98, s29
	v_mad_u64_u32 v[2:3], s[0:1], v98, s28, 0
	s_load_dwordx2 s[0:1], s[6:7], 0x0
	s_load_dwordx2 s[28:29], s[2:3], 0x0
	v_add3_u32 v3, v3, v9, v8
	v_sub_co_u32_e32 v2, vcc, v6, v2
	v_subb_co_u32_e32 v3, vcc, v7, v3, vcc
	s_waitcnt lgkmcnt(0)
	v_mul_lo_u32 v6, s0, v3
	v_mul_lo_u32 v7, s1, v2
	v_mad_u64_u32 v[4:5], s[0:1], s0, v2, v[4:5]
	v_mul_lo_u32 v3, s28, v3
	v_mul_lo_u32 v8, s29, v2
	v_mad_u64_u32 v[96:97], s[0:1], s28, v2, v[96:97]
	s_add_u32 s26, s26, 1
	s_addc_u32 s27, s27, 0
	s_add_u32 s2, s2, 8
	v_add3_u32 v97, v8, v97, v3
	s_addc_u32 s3, s3, 0
	v_mov_b32_e32 v2, s14
	s_add_u32 s6, s6, 8
	v_mov_b32_e32 v3, s15
	s_addc_u32 s7, s7, 0
	v_cmp_ge_u64_e32 vcc, s[26:27], v[2:3]
	s_add_u32 s24, s24, 8
	v_add3_u32 v5, v7, v5, v6
	s_addc_u32 s25, s25, 0
	s_cbranch_vccnz .LBB0_9
; %bb.7:                                ;   in Loop: Header=BB0_2 Depth=1
	v_mov_b32_e32 v6, v98
	v_mov_b32_e32 v7, v99
	s_branch .LBB0_2
.LBB0_8:
	v_mov_b32_e32 v97, v5
	v_mov_b32_e32 v99, v7
	;; [unrolled: 1-line block ×4, first 2 shown]
.LBB0_9:
	s_load_dwordx2 s[0:1], s[4:5], 0x28
	s_mov_b32 s4, 0x226b903
	v_mul_hi_u32 v1, v0, s4
	s_lshl_b64 s[2:3], s[14:15], 3
	s_add_u32 s4, s18, s2
	s_waitcnt lgkmcnt(0)
	v_cmp_gt_u64_e32 vcc, s[0:1], v[98:99]
	v_mul_u32_u24_e32 v1, 0x77, v1
	v_sub_u32_e32 v104, v0, v1
	s_movk_i32 s0, 0x62
	v_cmp_gt_u32_e64 s[0:1], s0, v104
	s_addc_u32 s5, s19, s3
	s_and_b64 s[14:15], vcc, s[0:1]
                                        ; implicit-def: $vgpr50_vgpr51
                                        ; implicit-def: $vgpr54_vgpr55
                                        ; implicit-def: $vgpr42_vgpr43
                                        ; implicit-def: $vgpr34_vgpr35
                                        ; implicit-def: $vgpr26_vgpr27
                                        ; implicit-def: $vgpr18_vgpr19
                                        ; implicit-def: $vgpr10_vgpr11
                                        ; implicit-def: $vgpr2_vgpr3
                                        ; implicit-def: $vgpr6_vgpr7
                                        ; implicit-def: $vgpr14_vgpr15
                                        ; implicit-def: $vgpr22_vgpr23
                                        ; implicit-def: $vgpr30_vgpr31
                                        ; implicit-def: $vgpr38_vgpr39
                                        ; implicit-def: $vgpr46_vgpr47
                                        ; implicit-def: $vgpr62_vgpr63
                                        ; implicit-def: $vgpr66_vgpr67
                                        ; implicit-def: $vgpr58_vgpr59
	s_and_saveexec_b64 s[6:7], s[14:15]
	s_cbranch_execz .LBB0_11
; %bb.10:
	s_add_u32 s2, s16, s2
	s_addc_u32 s3, s17, s3
	s_load_dwordx2 s[2:3], s[2:3], 0x0
	v_mad_u64_u32 v[0:1], s[14:15], s22, v104, 0
	v_add_u32_e32 v10, 0x126, v104
	s_waitcnt lgkmcnt(0)
	v_mul_lo_u32 v8, s3, v98
	v_mul_lo_u32 v9, s2, v99
	v_mad_u64_u32 v[2:3], s[2:3], s2, v98, 0
	v_mad_u64_u32 v[6:7], s[2:3], s23, v104, v[1:2]
	v_add3_u32 v3, v3, v9, v8
	v_lshlrev_b64 v[2:3], 4, v[2:3]
	v_mov_b32_e32 v1, v6
	v_mov_b32_e32 v6, s9
	v_add_co_u32_e64 v7, s[2:3], s8, v2
	v_add_u32_e32 v8, 0x62, v104
	v_addc_co_u32_e64 v6, s[2:3], v6, v3, s[2:3]
	v_lshlrev_b64 v[2:3], 4, v[4:5]
	v_mad_u64_u32 v[4:5], s[2:3], s22, v8, 0
	v_add_co_u32_e64 v12, s[2:3], v7, v2
	v_mov_b32_e32 v2, v5
	v_addc_co_u32_e64 v13, s[2:3], v6, v3, s[2:3]
	v_mad_u64_u32 v[2:3], s[2:3], s23, v8, v[2:3]
	v_add_u32_e32 v8, 0xc4, v104
	v_mad_u64_u32 v[6:7], s[2:3], s22, v8, 0
	v_lshlrev_b64 v[0:1], 4, v[0:1]
	v_mov_b32_e32 v5, v2
	v_add_co_u32_e64 v0, s[2:3], v12, v0
	v_lshlrev_b64 v[2:3], 4, v[4:5]
	v_mov_b32_e32 v4, v7
	v_addc_co_u32_e64 v1, s[2:3], v13, v1, s[2:3]
	v_mad_u64_u32 v[4:5], s[2:3], s23, v8, v[4:5]
	v_mad_u64_u32 v[8:9], s[2:3], s22, v10, 0
	v_mov_b32_e32 v7, v4
	v_add_co_u32_e64 v2, s[2:3], v12, v2
	v_lshlrev_b64 v[4:5], 4, v[6:7]
	v_mov_b32_e32 v6, v9
	v_addc_co_u32_e64 v3, s[2:3], v13, v3, s[2:3]
	v_mad_u64_u32 v[6:7], s[2:3], s23, v10, v[6:7]
	v_add_u32_e32 v7, 0x188, v104
	v_mad_u64_u32 v[10:11], s[2:3], s22, v7, 0
	v_add_co_u32_e64 v68, s[2:3], v12, v4
	v_mov_b32_e32 v9, v6
	v_mov_b32_e32 v6, v11
	v_addc_co_u32_e64 v69, s[2:3], v13, v5, s[2:3]
	v_lshlrev_b64 v[4:5], 4, v[8:9]
	v_mad_u64_u32 v[6:7], s[2:3], s23, v7, v[6:7]
	v_add_u32_e32 v9, 0x1ea, v104
	v_mad_u64_u32 v[7:8], s[2:3], s22, v9, 0
	v_add_co_u32_e64 v70, s[2:3], v12, v4
	v_mov_b32_e32 v11, v6
	v_mov_b32_e32 v6, v8
	v_addc_co_u32_e64 v71, s[2:3], v13, v5, s[2:3]
	v_lshlrev_b64 v[4:5], 4, v[10:11]
	v_mad_u64_u32 v[8:9], s[2:3], s23, v9, v[6:7]
	v_add_u32_e32 v11, 0x24c, v104
	v_mad_u64_u32 v[9:10], s[2:3], s22, v11, 0
	v_add_co_u32_e64 v72, s[2:3], v12, v4
	v_mov_b32_e32 v6, v10
	v_addc_co_u32_e64 v73, s[2:3], v13, v5, s[2:3]
	v_lshlrev_b64 v[4:5], 4, v[7:8]
	v_mad_u64_u32 v[6:7], s[2:3], s23, v11, v[6:7]
	v_add_u32_e32 v11, 0x2ae, v104
	v_mad_u64_u32 v[7:8], s[2:3], s22, v11, 0
	v_add_co_u32_e64 v74, s[2:3], v12, v4
	v_mov_b32_e32 v10, v6
	v_mov_b32_e32 v6, v8
	v_addc_co_u32_e64 v75, s[2:3], v13, v5, s[2:3]
	v_lshlrev_b64 v[4:5], 4, v[9:10]
	v_mad_u64_u32 v[8:9], s[2:3], s23, v11, v[6:7]
	v_add_u32_e32 v11, 0x310, v104
	v_mad_u64_u32 v[9:10], s[2:3], s22, v11, 0
	v_add_co_u32_e64 v76, s[2:3], v12, v4
	;; [unrolled: 15-line block ×6, first 2 shown]
	v_mov_b32_e32 v6, v10
	v_addc_co_u32_e64 v93, s[2:3], v13, v5, s[2:3]
	v_lshlrev_b64 v[4:5], 4, v[7:8]
	v_mad_u64_u32 v[6:7], s[2:3], s23, v11, v[6:7]
	v_add_co_u32_e64 v94, s[2:3], v12, v4
	v_mov_b32_e32 v10, v6
	global_load_dwordx4 v[56:59], v[0:1], off
	global_load_dwordx4 v[64:67], v[2:3], off
	v_lshlrev_b64 v[0:1], 4, v[9:10]
	v_addc_co_u32_e64 v95, s[2:3], v13, v5, s[2:3]
	v_add_co_u32_e64 v100, s[2:3], v12, v0
	v_addc_co_u32_e64 v101, s[2:3], v13, v1, s[2:3]
	global_load_dwordx4 v[60:63], v[68:69], off
	global_load_dwordx4 v[44:47], v[70:71], off
	;; [unrolled: 1-line block ×15, first 2 shown]
.LBB0_11:
	s_or_b64 exec, exec, s[6:7]
	s_and_saveexec_b64 s[2:3], s[0:1]
	s_cbranch_execz .LBB0_13
; %bb.12:
	s_waitcnt vmcnt(15)
	v_add_f64 v[68:69], v[64:65], v[56:57]
	s_waitcnt vmcnt(0)
	v_add_f64 v[105:106], v[66:67], -v[50:51]
	s_mov_b32 s40, 0x5d8e7cdc
	s_mov_b32 s41, 0x3fd71e95
	;; [unrolled: 1-line block ×4, first 2 shown]
	v_add_f64 v[78:79], v[48:49], v[64:65]
	v_add_f64 v[107:108], v[62:63], -v[54:55]
	v_add_f64 v[68:69], v[60:61], v[68:69]
	v_mul_f64 v[88:89], v[105:106], s[44:45]
	s_mov_b32 s36, 0x2a9d6da3
	s_mov_b32 s6, 0x370991
	;; [unrolled: 1-line block ×6, first 2 shown]
	v_add_f64 v[68:69], v[44:45], v[68:69]
	v_add_f64 v[74:75], v[52:53], v[60:61]
	v_add_f64 v[109:110], v[46:47], -v[42:43]
	v_mul_f64 v[86:87], v[107:108], s[38:39]
	v_fma_f64 v[76:77], v[78:79], s[6:7], -v[88:89]
	s_mov_b32 s8, 0x75d4884
	s_mov_b32 s34, 0x7c9e640b
	;; [unrolled: 1-line block ×3, first 2 shown]
	v_add_f64 v[68:69], v[36:37], v[68:69]
	s_mov_b32 s35, 0x3feca52d
	s_mov_b32 s53, 0xbfeca52d
	;; [unrolled: 1-line block ×3, first 2 shown]
	v_add_f64 v[72:73], v[40:41], v[44:45]
	v_mul_f64 v[84:85], v[109:110], s[52:53]
	v_fma_f64 v[90:91], v[74:75], s[8:9], -v[86:87]
	v_add_f64 v[76:77], v[56:57], v[76:77]
	v_add_f64 v[68:69], v[28:29], v[68:69]
	s_mov_b32 s14, 0x2b2883cd
	s_mov_b32 s15, 0x3fdc86fa
	v_add_f64 v[111:112], v[38:39], -v[34:35]
	s_mov_b32 s28, 0xeb564b22
	v_fma_f64 v[92:93], v[72:73], s[14:15], -v[84:85]
	s_mov_b32 s29, 0x3fefdd0d
	v_add_f64 v[90:91], v[90:91], v[76:77]
	v_add_f64 v[80:81], v[20:21], v[68:69]
	s_mov_b32 s51, 0xbfefdd0d
	s_mov_b32 s50, s28
	v_add_f64 v[70:71], v[32:33], v[36:37]
	v_add_f64 v[113:114], v[30:31], -v[26:27]
	v_mul_f64 v[82:83], v[111:112], s[50:51]
	v_mul_f64 v[117:118], v[105:106], s[52:53]
	v_add_f64 v[90:91], v[92:93], v[90:91]
	v_add_f64 v[80:81], v[12:13], v[80:81]
	s_mov_b32 s16, 0x3259b75e
	s_mov_b32 s30, 0x923c349f
	;; [unrolled: 1-line block ×6, first 2 shown]
	v_add_f64 v[68:69], v[24:25], v[28:29]
	v_add_f64 v[94:95], v[4:5], v[80:81]
	v_add_f64 v[115:116], v[22:23], -v[18:19]
	v_mul_f64 v[80:81], v[113:114], s[30:31]
	v_fma_f64 v[100:101], v[70:71], s[16:17], -v[82:83]
	v_mul_f64 v[121:122], v[107:108], s[42:43]
	v_fma_f64 v[102:103], v[78:79], s[14:15], -v[117:118]
	s_mov_b32 s18, 0xc61f0d01
	s_mov_b32 s22, 0x6ed5f1bb
	v_add_f64 v[92:93], v[0:1], v[94:95]
	s_mov_b32 s46, 0xacd6c6b4
	s_mov_b32 s19, 0xbfd183b1
	;; [unrolled: 1-line block ×6, first 2 shown]
	v_add_f64 v[76:77], v[16:17], v[20:21]
	v_add_f64 v[92:93], v[8:9], v[92:93]
	v_add_f64 v[119:120], v[14:15], -v[10:11]
	v_fma_f64 v[94:95], v[68:69], s[18:19], -v[80:81]
	v_add_f64 v[100:101], v[100:101], v[90:91]
	v_mul_f64 v[90:91], v[115:116], s[42:43]
	v_fma_f64 v[123:124], v[74:75], s[22:23], -v[121:122]
	v_add_f64 v[102:103], v[56:57], v[102:103]
	v_mul_f64 v[127:128], v[109:110], s[24:25]
	v_add_f64 v[125:126], v[16:17], v[92:93]
	s_mov_b32 s48, 0x4363dd80
	s_mov_b32 s24, 0x7faef3
	;; [unrolled: 1-line block ×6, first 2 shown]
	v_add_f64 v[100:101], v[94:95], v[100:101]
	v_add_f64 v[125:126], v[24:25], v[125:126]
	;; [unrolled: 1-line block ×3, first 2 shown]
	v_mul_f64 v[94:95], v[119:120], s[48:49]
	v_fma_f64 v[129:130], v[76:77], s[22:23], -v[90:91]
	v_add_f64 v[102:103], v[123:124], v[102:103]
	v_fma_f64 v[123:124], v[72:73], s[24:25], -v[127:128]
	v_mul_f64 v[131:132], v[111:112], s[54:55]
	v_add_f64 v[135:136], v[6:7], -v[2:3]
	v_add_f64 v[125:126], v[32:33], v[125:126]
	s_mov_b32 s26, 0x910ea3b9
	s_mov_b32 s27, 0xbfeb34fa
	v_fma_f64 v[133:134], v[92:93], s[26:27], -v[94:95]
	v_add_f64 v[129:130], v[129:130], v[100:101]
	v_add_f64 v[123:124], v[123:124], v[102:103]
	v_fma_f64 v[137:138], v[70:71], s[18:19], -v[131:132]
	v_add_f64 v[100:101], v[0:1], v[4:5]
	v_mul_f64 v[139:140], v[113:114], s[36:37]
	v_mul_f64 v[102:103], v[135:136], s[46:47]
	v_add_f64 v[125:126], v[40:41], v[125:126]
	v_mul_f64 v[141:142], v[105:106], s[38:39]
	v_add_f64 v[129:130], v[133:134], v[129:130]
	;; [unrolled: 2-line block ×3, first 2 shown]
	v_mul_f64 v[137:138], v[107:108], s[50:51]
	v_fma_f64 v[143:144], v[68:69], s[8:9], -v[139:140]
	v_fma_f64 v[145:146], v[100:101], s[24:25], -v[102:103]
	v_add_f64 v[125:126], v[52:53], v[125:126]
	v_fma_f64 v[147:148], v[78:79], s[8:9], -v[141:142]
	s_movk_i32 s33, 0x88
	v_mad_u32_u24 v237, v104, s33, 0
	v_fma_f64 v[149:150], v[76:77], s[6:7], -v[133:134]
	v_fma_f64 v[151:152], v[74:75], s[16:17], -v[137:138]
	v_add_f64 v[123:124], v[143:144], v[123:124]
	v_add_f64 v[129:130], v[145:146], v[129:130]
	;; [unrolled: 1-line block ×4, first 2 shown]
	v_mul_f64 v[145:146], v[109:110], s[42:43]
	v_mul_f64 v[147:148], v[119:120], s[50:51]
	v_mul_f64 v[153:154], v[105:106], s[30:31]
	s_mov_b32 s57, 0x3fe0d888
	s_mov_b32 s56, s48
	v_add_f64 v[123:124], v[149:150], v[123:124]
	ds_write2_b64 v237, v[125:126], v[129:130] offset1:1
	v_add_f64 v[125:126], v[151:152], v[143:144]
	v_fma_f64 v[129:130], v[72:73], s[22:23], -v[145:146]
	v_mul_f64 v[143:144], v[111:112], s[46:47]
	v_fma_f64 v[149:150], v[92:93], s[16:17], -v[147:148]
	v_mul_f64 v[151:152], v[135:136], s[48:49]
	;; [unrolled: 2-line block ×3, first 2 shown]
	v_mul_f64 v[159:160], v[113:114], s[56:57]
	v_mul_f64 v[161:162], v[105:106], s[50:51]
	v_add_f64 v[125:126], v[129:130], v[125:126]
	v_fma_f64 v[129:130], v[70:71], s[24:25], -v[143:144]
	v_add_f64 v[123:124], v[149:150], v[123:124]
	v_fma_f64 v[149:150], v[100:101], s[26:27], -v[151:152]
	;; [unrolled: 2-line block ×3, first 2 shown]
	v_mul_f64 v[165:166], v[109:110], s[36:37]
	v_mul_f64 v[167:168], v[115:116], s[54:55]
	;; [unrolled: 1-line block ×3, first 2 shown]
	v_add_f64 v[125:126], v[129:130], v[125:126]
	v_fma_f64 v[129:130], v[68:69], s[26:27], -v[159:160]
	v_add_f64 v[123:124], v[149:150], v[123:124]
	v_fma_f64 v[149:150], v[78:79], s[16:17], -v[161:162]
	;; [unrolled: 2-line block ×3, first 2 shown]
	v_mul_f64 v[171:172], v[111:112], s[52:53]
	v_mul_f64 v[173:174], v[119:120], s[34:35]
	v_fma_f64 v[175:176], v[74:75], s[24:25], -v[169:170]
	v_add_f64 v[125:126], v[129:130], v[125:126]
	v_fma_f64 v[129:130], v[76:77], s[18:19], -v[167:168]
	v_add_f64 v[149:150], v[56:57], v[149:150]
	v_mul_f64 v[177:178], v[109:110], s[54:55]
	v_add_f64 v[155:156], v[163:164], v[155:156]
	v_fma_f64 v[163:164], v[70:71], s[14:15], -v[171:172]
	v_mul_f64 v[179:180], v[113:114], s[46:47]
	v_mul_f64 v[181:182], v[135:136], s[40:41]
	v_mul_f64 v[183:184], v[111:112], s[40:41]
	v_add_f64 v[125:126], v[129:130], v[125:126]
	v_fma_f64 v[129:130], v[92:93], s[14:15], -v[173:174]
	v_add_f64 v[149:150], v[175:176], v[149:150]
	v_fma_f64 v[175:176], v[72:73], s[18:19], -v[177:178]
	v_add_f64 v[155:156], v[163:164], v[155:156]
	v_fma_f64 v[163:164], v[68:69], s[24:25], -v[179:180]
	v_mul_f64 v[185:186], v[115:116], s[28:29]
	v_mul_f64 v[187:188], v[105:106], s[48:49]
	v_mul_f64 v[189:190], v[113:114], s[52:53]
	v_add_f64 v[125:126], v[129:130], v[125:126]
	v_fma_f64 v[129:130], v[100:101], s[6:7], -v[181:182]
	v_add_f64 v[149:150], v[175:176], v[149:150]
	v_fma_f64 v[175:176], v[70:71], s[6:7], -v[183:184]
	;; [unrolled: 9-line block ×3, first 2 shown]
	v_add_f64 v[155:156], v[163:164], v[155:156]
	v_fma_f64 v[163:164], v[92:93], s[6:7], -v[191:192]
	v_fma_f64 v[199:200], v[74:75], s[14:15], -v[193:194]
	v_mul_f64 v[201:202], v[109:110], s[50:51]
	v_mul_f64 v[203:204], v[105:106], s[42:43]
	v_add_f64 v[129:130], v[56:57], v[129:130]
	s_mov_b32 s51, 0x3fe9895b
	s_mov_b32 s50, s42
	v_mul_f64 v[197:198], v[135:136], s[42:43]
	v_add_f64 v[149:150], v[175:176], v[149:150]
	v_fma_f64 v[175:176], v[76:77], s[26:27], -v[195:196]
	v_mul_f64 v[205:206], v[119:120], s[50:51]
	v_mul_f64 v[207:208], v[111:112], s[50:51]
	v_add_f64 v[129:130], v[199:200], v[129:130]
	v_fma_f64 v[199:200], v[72:73], s[16:17], -v[201:202]
	v_add_f64 v[155:156], v[163:164], v[155:156]
	v_fma_f64 v[163:164], v[78:79], s[22:23], -v[203:204]
	v_mul_f64 v[209:210], v[107:108], s[54:55]
	v_fma_f64 v[211:212], v[100:101], s[22:23], -v[197:198]
	v_add_f64 v[149:150], v[175:176], v[149:150]
	v_fma_f64 v[175:176], v[92:93], s[22:23], -v[205:206]
	v_mul_f64 v[213:214], v[113:114], s[44:45]
	v_add_f64 v[129:130], v[199:200], v[129:130]
	v_fma_f64 v[199:200], v[70:71], s[22:23], -v[207:208]
	v_add_f64 v[163:164], v[56:57], v[163:164]
	v_fma_f64 v[215:216], v[74:75], s[18:19], -v[209:210]
	v_mul_f64 v[217:218], v[109:110], s[44:45]
	v_add_f64 v[155:156], v[211:212], v[155:156]
	v_add_f64 v[149:150], v[175:176], v[149:150]
	v_fma_f64 v[175:176], v[68:69], s[6:7], -v[213:214]
	v_mul_f64 v[223:224], v[119:120], s[36:37]
	v_add_f64 v[129:130], v[199:200], v[129:130]
	v_mul_f64 v[199:200], v[115:116], s[46:47]
	v_add_f64 v[163:164], v[215:216], v[163:164]
	v_fma_f64 v[211:212], v[72:73], s[6:7], -v[217:218]
	v_mul_f64 v[215:216], v[111:112], s[48:49]
	v_mul_f64 v[225:226], v[113:114], s[28:29]
	;; [unrolled: 1-line block ×4, first 2 shown]
	v_add_f64 v[129:130], v[175:176], v[129:130]
	v_fma_f64 v[175:176], v[76:77], s[24:25], -v[199:200]
	v_mul_f64 v[107:108], v[107:108], s[40:41]
	v_add_f64 v[163:164], v[211:212], v[163:164]
	v_fma_f64 v[211:212], v[70:71], s[26:27], -v[215:216]
	v_mul_f64 v[233:234], v[119:120], s[46:47]
	v_fma_f64 v[221:222], v[78:79], s[24:25], v[105:106]
	v_fma_f64 v[105:106], v[78:79], s[24:25], -v[105:106]
	v_mul_f64 v[109:110], v[109:110], s[48:49]
	v_add_f64 v[129:130], v[175:176], v[129:130]
	v_fma_f64 v[175:176], v[92:93], s[8:9], -v[223:224]
	v_fma_f64 v[227:228], v[74:75], s[6:7], v[107:108]
	v_add_f64 v[163:164], v[211:212], v[163:164]
	v_fma_f64 v[211:212], v[68:69], s[16:17], -v[225:226]
	v_add_f64 v[221:222], v[56:57], v[221:222]
	v_fma_f64 v[107:108], v[74:75], s[6:7], -v[107:108]
	v_add_f64 v[105:106], v[56:57], v[105:106]
	v_fma_f64 v[187:188], v[78:79], s[26:27], v[187:188]
	v_add_f64 v[129:130], v[175:176], v[129:130]
	v_mul_f64 v[175:176], v[135:136], s[30:31]
	v_mul_f64 v[111:112], v[111:112], s[36:37]
	v_add_f64 v[163:164], v[211:212], v[163:164]
	v_fma_f64 v[211:212], v[76:77], s[8:9], -v[231:232]
	v_add_f64 v[221:222], v[227:228], v[221:222]
	v_fma_f64 v[227:228], v[72:73], s[26:27], v[109:110]
	v_add_f64 v[105:106], v[107:108], v[105:106]
	v_fma_f64 v[107:108], v[72:73], s[26:27], -v[109:110]
	v_fma_f64 v[235:236], v[100:101], s[18:19], -v[175:176]
	v_add_f64 v[187:188], v[56:57], v[187:188]
	v_mul_f64 v[113:114], v[113:114], s[42:43]
	v_add_f64 v[163:164], v[211:212], v[163:164]
	v_fma_f64 v[211:212], v[92:93], s[24:25], -v[233:234]
	v_add_f64 v[221:222], v[227:228], v[221:222]
	v_fma_f64 v[227:228], v[70:71], s[8:9], v[111:112]
	v_add_f64 v[105:106], v[107:108], v[105:106]
	v_add_f64 v[109:110], v[235:236], v[129:130]
	v_fma_f64 v[111:112], v[70:71], s[8:9], -v[111:112]
	v_mul_f64 v[115:116], v[115:116], s[34:35]
	v_fma_f64 v[107:108], v[78:79], s[22:23], v[203:204]
	v_add_f64 v[129:130], v[211:212], v[163:164]
	v_fma_f64 v[163:164], v[74:75], s[14:15], v[193:194]
	v_add_f64 v[221:222], v[227:228], v[221:222]
	v_fma_f64 v[227:228], v[68:69], s[22:23], v[113:114]
	v_mul_f64 v[119:120], v[119:120], s[30:31]
	v_add_f64 v[105:106], v[111:112], v[105:106]
	v_fma_f64 v[111:112], v[68:69], s[22:23], -v[113:114]
	v_fma_f64 v[203:204], v[76:77], s[14:15], v[115:116]
	v_fma_f64 v[209:210], v[74:75], s[18:19], v[209:210]
	v_add_f64 v[163:164], v[163:164], v[187:188]
	v_fma_f64 v[187:188], v[72:73], s[16:17], v[201:202]
	v_add_f64 v[211:212], v[227:228], v[221:222]
	v_add_f64 v[107:108], v[56:57], v[107:108]
	v_fma_f64 v[117:118], v[78:79], s[14:15], v[117:118]
	v_add_f64 v[105:106], v[111:112], v[105:106]
	v_fma_f64 v[111:112], v[76:77], s[14:15], -v[115:116]
	v_fma_f64 v[115:116], v[78:79], s[18:19], v[153:154]
	v_fma_f64 v[121:122], v[74:75], s[22:23], v[121:122]
	v_add_f64 v[163:164], v[187:188], v[163:164]
	v_fma_f64 v[187:188], v[70:71], s[22:23], v[207:208]
	v_add_f64 v[113:114], v[203:204], v[211:212]
	v_fma_f64 v[203:204], v[92:93], s[18:19], v[119:120]
	v_fma_f64 v[119:120], v[92:93], s[18:19], -v[119:120]
	v_add_f64 v[105:106], v[111:112], v[105:106]
	v_fma_f64 v[111:112], v[74:75], s[26:27], v[157:158]
	v_add_f64 v[115:116], v[56:57], v[115:116]
	v_fma_f64 v[157:158], v[76:77], s[24:25], v[199:200]
	;; [unrolled: 2-line block ×4, first 2 shown]
	v_add_f64 v[105:106], v[119:120], v[105:106]
	v_add_f64 v[117:118], v[56:57], v[117:118]
	;; [unrolled: 1-line block ×3, first 2 shown]
	v_fma_f64 v[115:116], v[72:73], s[8:9], v[165:166]
	v_add_f64 v[113:114], v[203:204], v[113:114]
	v_add_f64 v[153:154], v[163:164], v[153:154]
	v_fma_f64 v[203:204], v[70:71], s[26:27], v[215:216]
	v_add_f64 v[107:108], v[207:208], v[107:108]
	v_fma_f64 v[137:138], v[74:75], s[16:17], v[137:138]
	;; [unrolled: 2-line block ×5, first 2 shown]
	v_fma_f64 v[141:142], v[74:75], s[24:25], v[169:170]
	v_fma_f64 v[78:79], v[78:79], s[6:7], v[88:89]
	;; [unrolled: 1-line block ×4, first 2 shown]
	v_add_f64 v[107:108], v[203:204], v[107:108]
	v_add_f64 v[115:116], v[56:57], v[115:116]
	v_fma_f64 v[121:122], v[72:73], s[22:23], v[145:146]
	v_add_f64 v[153:154], v[56:57], v[153:154]
	v_fma_f64 v[86:87], v[70:71], s[18:19], v[131:132]
	;; [unrolled: 2-line block ×3, first 2 shown]
	v_add_f64 v[78:79], v[88:89], v[117:118]
	v_add_f64 v[107:108], v[163:164], v[107:108]
	;; [unrolled: 1-line block ×3, first 2 shown]
	v_fma_f64 v[163:164], v[70:71], s[14:15], v[171:172]
	v_add_f64 v[141:142], v[141:142], v[153:154]
	v_fma_f64 v[153:154], v[72:73], s[18:19], v[177:178]
	v_fma_f64 v[72:73], v[72:73], s[14:15], v[84:85]
	v_add_f64 v[56:57], v[74:75], v[56:57]
	v_fma_f64 v[74:75], v[68:69], s[14:15], v[189:190]
	v_add_f64 v[78:79], v[86:87], v[78:79]
	v_add_f64 v[88:89], v[121:122], v[115:116]
	v_fma_f64 v[115:116], v[70:71], s[24:25], v[143:144]
	v_fma_f64 v[84:85], v[68:69], s[8:9], v[139:140]
	v_add_f64 v[137:138], v[153:154], v[141:142]
	v_fma_f64 v[141:142], v[70:71], s[6:7], v[183:184]
	v_fma_f64 v[70:71], v[70:71], s[16:17], v[82:83]
	v_add_f64 v[56:57], v[72:73], v[56:57]
	v_add_f64 v[111:112], v[163:164], v[111:112]
	v_fma_f64 v[82:83], v[76:77], s[6:7], v[133:134]
	v_add_f64 v[86:87], v[115:116], v[88:89]
	v_fma_f64 v[88:89], v[68:69], s[26:27], v[159:160]
	v_fma_f64 v[68:69], v[68:69], s[18:19], v[80:81]
	v_add_f64 v[117:118], v[141:142], v[137:138]
	v_add_f64 v[78:79], v[84:85], v[78:79]
	v_add_f64 v[56:57], v[70:71], v[56:57]
	v_fma_f64 v[161:162], v[76:77], s[8:9], v[231:232]
	v_add_f64 v[111:112], v[127:128], v[111:112]
	v_fma_f64 v[115:116], v[76:77], s[16:17], v[185:186]
	v_add_f64 v[84:85], v[88:89], v[86:87]
	;; [unrolled: 2-line block ×3, first 2 shown]
	v_fma_f64 v[74:75], v[76:77], s[26:27], v[195:196]
	v_fma_f64 v[76:77], v[76:77], s[22:23], v[90:91]
	v_add_f64 v[56:57], v[68:69], v[56:57]
	v_mul_f64 v[219:220], v[135:136], s[36:37]
	v_mul_f64 v[193:194], v[135:136], s[34:35]
	;; [unrolled: 1-line block ×3, first 2 shown]
	v_add_f64 v[78:79], v[82:83], v[78:79]
	v_fma_f64 v[68:69], v[92:93], s[16:17], v[147:148]
	v_add_f64 v[72:73], v[74:75], v[72:73]
	v_fma_f64 v[74:75], v[92:93], s[22:23], v[205:206]
	v_fma_f64 v[157:158], v[92:93], s[8:9], v[223:224]
	v_add_f64 v[107:108], v[161:162], v[107:108]
	v_fma_f64 v[161:162], v[92:93], s[24:25], v[233:234]
	v_add_f64 v[70:71], v[115:116], v[111:112]
	;; [unrolled: 2-line block ×5, first 2 shown]
	v_fma_f64 v[229:230], v[100:101], s[8:9], -v[219:220]
	v_fma_f64 v[201:202], v[100:101], s[14:15], -v[193:194]
	v_fma_f64 v[187:188], v[100:101], s[16:17], v[135:136]
	v_add_f64 v[68:69], v[68:69], v[78:79]
	v_fma_f64 v[78:79], v[100:101], s[16:17], -v[135:136]
	v_add_f64 v[86:87], v[157:158], v[119:120]
	v_add_f64 v[88:89], v[161:162], v[107:108]
	;; [unrolled: 1-line block ×4, first 2 shown]
	v_fma_f64 v[80:81], v[100:101], s[18:19], v[175:176]
	v_fma_f64 v[82:83], v[100:101], s[14:15], v[193:194]
	;; [unrolled: 1-line block ×7, first 2 shown]
	v_add_f64 v[56:57], v[74:75], v[56:57]
	v_add_f64 v[149:150], v[229:230], v[149:150]
	v_add_f64 v[129:130], v[201:202], v[129:130]
	v_add_f64 v[113:114], v[187:188], v[113:114]
	v_add_f64 v[74:75], v[78:79], v[105:106]
	v_add_f64 v[78:79], v[80:81], v[86:87]
	v_add_f64 v[80:81], v[82:83], v[88:89]
	v_add_f64 v[70:71], v[84:85], v[70:71]
	v_add_f64 v[72:73], v[90:91], v[72:73]
	v_add_f64 v[68:69], v[92:93], v[68:69]
	v_add_f64 v[76:77], v[94:95], v[76:77]
	v_add_f64 v[56:57], v[100:101], v[56:57]
	ds_write2_b64 v237, v[125:126], v[123:124] offset0:2 offset1:3
	ds_write2_b64 v237, v[149:150], v[155:156] offset0:4 offset1:5
	;; [unrolled: 1-line block ×7, first 2 shown]
	ds_write_b64 v237, v[56:57] offset:128
.LBB0_13:
	s_or_b64 exec, exec, s[2:3]
	s_waitcnt vmcnt(16)
	v_lshl_add_u32 v56, v104, 3, 0
	v_add_u32_e32 v57, 0x1400, v56
	v_add_u32_e32 v100, 0x1c00, v56
	;; [unrolled: 1-line block ×6, first 2 shown]
	s_waitcnt vmcnt(0) lgkmcnt(0)
	s_barrier
	ds_read2_b64 v[72:75], v56 offset1:119
	ds_read2_b64 v[68:71], v57 offset0:74 offset1:193
	ds_read2_b64 v[84:87], v100 offset0:56 offset1:175
	;; [unrolled: 1-line block ×6, first 2 shown]
	s_waitcnt lgkmcnt(0)
	s_barrier
	s_and_saveexec_b64 s[2:3], s[0:1]
	s_cbranch_execz .LBB0_15
; %bb.14:
	v_add_f64 v[106:107], v[66:67], v[58:59]
	v_add_f64 v[48:49], v[64:65], -v[48:49]
	v_add_f64 v[52:53], v[60:61], -v[52:53]
	s_mov_b32 s26, 0x5d8e7cdc
	s_mov_b32 s42, 0x2a9d6da3
	;; [unrolled: 1-line block ×5, first 2 shown]
	v_add_f64 v[64:65], v[62:63], v[106:107]
	s_mov_b32 s24, 0x6c9a05f6
	s_mov_b32 s30, 0x4363dd80
	;; [unrolled: 1-line block ×7, first 2 shown]
	v_add_f64 v[64:65], v[46:47], v[64:65]
	s_mov_b32 s23, 0xbfeec746
	s_mov_b32 s25, 0xbfe9895b
	;; [unrolled: 1-line block ×4, first 2 shown]
	v_add_f64 v[66:67], v[50:51], v[66:67]
	v_mul_f64 v[106:107], v[48:49], s[42:43]
	v_mul_f64 v[108:109], v[48:49], s[44:45]
	v_add_f64 v[64:65], v[38:39], v[64:65]
	v_mul_f64 v[110:111], v[48:49], s[38:39]
	v_mul_f64 v[112:113], v[48:49], s[22:23]
	;; [unrolled: 1-line block ×4, first 2 shown]
	s_mov_b32 s16, 0x370991
	s_mov_b32 s8, 0x75d4884
	;; [unrolled: 1-line block ×3, first 2 shown]
	v_add_f64 v[64:65], v[30:31], v[64:65]
	s_mov_b32 s6, 0x3259b75e
	s_mov_b32 s14, 0xc61f0d01
	;; [unrolled: 1-line block ×7, first 2 shown]
	v_add_f64 v[64:65], v[22:23], v[64:65]
	s_mov_b32 s1, 0x3fdc86fa
	s_mov_b32 s7, 0x3fb79ee6
	;; [unrolled: 1-line block ×6, first 2 shown]
	v_add_f64 v[62:63], v[54:55], v[62:63]
	v_add_f64 v[60:61], v[14:15], v[64:65]
	v_mul_f64 v[64:65], v[48:49], s[26:27]
	v_mul_f64 v[48:49], v[48:49], s[40:41]
	v_mul_f64 v[118:119], v[52:53], s[42:43]
	v_mul_f64 v[120:121], v[52:53], s[38:39]
	v_mul_f64 v[122:123], v[52:53], s[24:25]
	v_mul_f64 v[124:125], v[52:53], s[40:41]
	v_fma_f64 v[134:135], v[66:67], s[8:9], v[106:107]
	v_add_f64 v[60:61], v[6:7], v[60:61]
	v_fma_f64 v[132:133], v[66:67], s[16:17], v[64:65]
	v_fma_f64 v[64:65], v[66:67], s[16:17], -v[64:65]
	v_fma_f64 v[106:107], v[66:67], s[8:9], -v[106:107]
	v_fma_f64 v[136:137], v[66:67], s[0:1], v[108:109]
	v_fma_f64 v[108:109], v[66:67], s[0:1], -v[108:109]
	v_fma_f64 v[138:139], v[66:67], s[6:7], v[110:111]
	v_fma_f64 v[110:111], v[66:67], s[6:7], -v[110:111]
	v_add_f64 v[60:61], v[2:3], v[60:61]
	v_fma_f64 v[140:141], v[66:67], s[14:15], v[112:113]
	v_fma_f64 v[112:113], v[66:67], s[14:15], -v[112:113]
	v_fma_f64 v[142:143], v[66:67], s[18:19], v[114:115]
	v_fma_f64 v[114:115], v[66:67], s[18:19], -v[114:115]
	;; [unrolled: 2-line block ×3, first 2 shown]
	v_fma_f64 v[146:147], v[66:67], s[34:35], v[48:49]
	v_add_f64 v[60:61], v[10:11], v[60:61]
	v_fma_f64 v[48:49], v[66:67], s[34:35], -v[48:49]
	s_mov_b32 s53, 0x3fe0d888
	s_mov_b32 s51, 0x3feec746
	;; [unrolled: 1-line block ×6, first 2 shown]
	v_add_f64 v[60:61], v[18:19], v[60:61]
	v_mul_f64 v[126:127], v[52:53], s[52:53]
	v_mul_f64 v[128:129], v[52:53], s[50:51]
	;; [unrolled: 1-line block ×3, first 2 shown]
	v_fma_f64 v[66:67], v[62:63], s[8:9], v[118:119]
	v_fma_f64 v[148:149], v[62:63], s[6:7], v[120:121]
	v_fma_f64 v[120:121], v[62:63], s[6:7], -v[120:121]
	v_fma_f64 v[150:151], v[62:63], s[18:19], v[122:123]
	v_add_f64 v[60:61], v[26:27], v[60:61]
	v_fma_f64 v[122:123], v[62:63], s[18:19], -v[122:123]
	v_fma_f64 v[152:153], v[62:63], s[34:35], v[124:125]
	v_fma_f64 v[124:125], v[62:63], s[34:35], -v[124:125]
	v_add_f64 v[132:133], v[58:59], v[132:133]
	v_add_f64 v[64:65], v[58:59], v[64:65]
	;; [unrolled: 1-line block ×18, first 2 shown]
	v_add_f64 v[40:41], v[44:45], -v[40:41]
	s_mov_b32 s47, 0x3fd71e95
	v_add_f64 v[48:49], v[54:55], v[60:61]
	s_mov_b32 s46, s26
	v_add_f64 v[54:55], v[66:67], v[132:133]
	v_add_f64 v[66:67], v[120:121], v[106:107]
	v_add_f64 v[108:109], v[122:123], v[108:109]
	v_fma_f64 v[120:121], v[62:63], s[28:29], -v[126:127]
	v_fma_f64 v[122:123], v[62:63], s[14:15], -v[128:129]
	v_mul_f64 v[52:53], v[52:53], s[46:47]
	v_add_f64 v[48:49], v[50:51], v[48:49]
	v_add_f64 v[50:51], v[124:125], v[110:111]
	v_fma_f64 v[124:125], v[62:63], s[0:1], v[130:131]
	v_add_f64 v[42:43], v[42:43], v[46:47]
	v_mul_f64 v[46:47], v[40:41], s[44:45]
	v_fma_f64 v[118:119], v[62:63], s[8:9], -v[118:119]
	v_fma_f64 v[154:155], v[62:63], s[28:29], v[126:127]
	v_fma_f64 v[44:45], v[62:63], s[14:15], v[128:129]
	v_fma_f64 v[126:127], v[62:63], s[0:1], -v[130:131]
	v_add_f64 v[112:113], v[120:121], v[112:113]
	v_add_f64 v[114:115], v[122:123], v[114:115]
	;; [unrolled: 1-line block ×3, first 2 shown]
	v_fma_f64 v[122:123], v[62:63], s[16:17], v[52:53]
	v_fma_f64 v[52:53], v[62:63], s[16:17], -v[52:53]
	v_fma_f64 v[62:63], v[42:43], s[0:1], v[46:47]
	v_mul_f64 v[124:125], v[40:41], s[24:25]
	s_mov_b32 s49, 0x3fc7851a
	s_mov_b32 s48, s40
	v_add_f64 v[60:61], v[118:119], v[64:65]
	v_add_f64 v[64:65], v[148:149], v[134:135]
	;; [unrolled: 1-line block ×3, first 2 shown]
	v_mul_f64 v[126:127], v[40:41], s[48:49]
	v_add_f64 v[52:53], v[52:53], v[58:59]
	v_add_f64 v[54:55], v[62:63], v[54:55]
	v_fma_f64 v[46:47], v[42:43], s[0:1], -v[46:47]
	v_fma_f64 v[58:59], v[42:43], s[18:19], v[124:125]
	v_mul_f64 v[62:63], v[40:41], s[50:51]
	v_fma_f64 v[124:125], v[42:43], s[18:19], -v[124:125]
	s_mov_b32 s49, 0x3fe58eea
	s_mov_b32 s48, s42
	v_add_f64 v[106:107], v[150:151], v[136:137]
	v_add_f64 v[118:119], v[152:153], v[138:139]
	v_fma_f64 v[128:129], v[42:43], s[34:35], v[126:127]
	v_mul_f64 v[130:131], v[40:41], s[48:49]
	v_add_f64 v[46:47], v[46:47], v[60:61]
	v_fma_f64 v[60:61], v[42:43], s[34:35], -v[126:127]
	v_fma_f64 v[126:127], v[42:43], s[14:15], v[62:63]
	v_add_f64 v[58:59], v[58:59], v[64:65]
	v_add_f64 v[64:65], v[124:125], v[66:67]
	v_fma_f64 v[62:63], v[42:43], s[14:15], -v[62:63]
	v_mul_f64 v[124:125], v[40:41], s[26:27]
	v_add_f64 v[110:111], v[154:155], v[140:141]
	v_add_f64 v[44:45], v[44:45], v[142:143]
	;; [unrolled: 1-line block ×3, first 2 shown]
	v_fma_f64 v[106:107], v[42:43], s[8:9], v[130:131]
	v_add_f64 v[60:61], v[60:61], v[108:109]
	v_add_f64 v[108:109], v[126:127], v[118:119]
	v_mul_f64 v[118:119], v[40:41], s[38:39]
	v_add_f64 v[50:51], v[62:63], v[50:51]
	v_add_f64 v[32:33], v[36:37], -v[32:33]
	v_fma_f64 v[62:63], v[42:43], s[16:17], v[124:125]
	v_mul_f64 v[40:41], v[40:41], s[30:31]
	v_fma_f64 v[126:127], v[42:43], s[8:9], -v[130:131]
	v_add_f64 v[36:37], v[106:107], v[110:111]
	v_fma_f64 v[106:107], v[42:43], s[16:17], -v[124:125]
	v_fma_f64 v[110:111], v[42:43], s[6:7], v[118:119]
	v_add_f64 v[34:35], v[34:35], v[38:39]
	v_mul_f64 v[38:39], v[32:33], s[38:39]
	v_fma_f64 v[118:119], v[42:43], s[6:7], -v[118:119]
	v_add_f64 v[44:45], v[62:63], v[44:45]
	v_fma_f64 v[62:63], v[42:43], s[28:29], v[40:41]
	v_fma_f64 v[40:41], v[42:43], s[28:29], -v[40:41]
	v_mul_f64 v[42:43], v[32:33], s[40:41]
	v_add_f64 v[122:123], v[122:123], v[146:147]
	v_add_f64 v[106:107], v[106:107], v[114:115]
	;; [unrolled: 1-line block ×3, first 2 shown]
	v_fma_f64 v[114:115], v[34:35], s[6:7], v[38:39]
	v_add_f64 v[116:117], v[118:119], v[116:117]
	v_mul_f64 v[118:119], v[32:33], s[50:51]
	v_fma_f64 v[38:39], v[34:35], s[6:7], -v[38:39]
	v_mul_f64 v[120:121], v[32:33], s[46:47]
	v_add_f64 v[40:41], v[40:41], v[52:53]
	v_fma_f64 v[52:53], v[34:35], s[34:35], v[42:43]
	v_add_f64 v[62:63], v[62:63], v[122:123]
	v_add_f64 v[54:55], v[114:115], v[54:55]
	v_fma_f64 v[42:43], v[34:35], s[34:35], -v[42:43]
	v_fma_f64 v[114:115], v[34:35], s[14:15], v[118:119]
	v_fma_f64 v[118:119], v[34:35], s[14:15], -v[118:119]
	v_add_f64 v[38:39], v[38:39], v[46:47]
	v_fma_f64 v[46:47], v[34:35], s[16:17], v[120:121]
	v_mul_f64 v[122:123], v[32:33], s[44:45]
	v_add_f64 v[52:53], v[52:53], v[58:59]
	v_mul_f64 v[58:59], v[32:33], s[30:31]
	s_mov_b32 s55, 0x3fe9895b
	s_mov_b32 s54, s24
	v_add_f64 v[112:113], v[126:127], v[112:113]
	v_add_f64 v[42:43], v[42:43], v[64:65]
	;; [unrolled: 1-line block ×4, first 2 shown]
	v_fma_f64 v[66:67], v[34:35], s[16:17], -v[120:121]
	v_add_f64 v[46:47], v[46:47], v[108:109]
	v_fma_f64 v[108:109], v[34:35], s[0:1], v[122:123]
	v_fma_f64 v[114:115], v[34:35], s[0:1], -v[122:123]
	v_fma_f64 v[118:119], v[34:35], s[28:29], v[58:59]
	v_mul_f64 v[120:121], v[32:33], s[54:55]
	v_mul_f64 v[32:33], v[32:33], s[48:49]
	v_add_f64 v[24:25], v[28:29], -v[24:25]
	v_fma_f64 v[58:59], v[34:35], s[28:29], -v[58:59]
	v_add_f64 v[50:51], v[66:67], v[50:51]
	v_add_f64 v[36:37], v[108:109], v[36:37]
	;; [unrolled: 1-line block ×4, first 2 shown]
	v_fma_f64 v[66:67], v[34:35], s[18:19], v[120:121]
	v_fma_f64 v[108:109], v[34:35], s[18:19], -v[120:121]
	v_fma_f64 v[112:113], v[34:35], s[8:9], v[32:33]
	v_mul_f64 v[30:31], v[24:25], s[22:23]
	v_fma_f64 v[32:33], v[34:35], s[8:9], -v[32:33]
	v_add_f64 v[34:35], v[58:59], v[106:107]
	v_mul_f64 v[58:59], v[24:25], s[52:53]
	v_mul_f64 v[106:107], v[24:25], s[48:49]
	v_add_f64 v[66:67], v[66:67], v[110:111]
	v_mul_f64 v[114:115], v[24:25], s[44:45]
	v_add_f64 v[62:63], v[112:113], v[62:63]
	v_fma_f64 v[110:111], v[26:27], s[14:15], v[30:31]
	v_add_f64 v[32:33], v[32:33], v[40:41]
	v_fma_f64 v[30:31], v[26:27], s[14:15], -v[30:31]
	v_fma_f64 v[40:41], v[26:27], s[28:29], v[58:59]
	v_fma_f64 v[58:59], v[26:27], s[28:29], -v[58:59]
	v_fma_f64 v[112:113], v[26:27], s[8:9], v[106:107]
	v_fma_f64 v[106:107], v[26:27], s[8:9], -v[106:107]
	s_mov_b32 s45, 0x3fefdd0d
	v_add_f64 v[54:55], v[110:111], v[54:55]
	v_mul_f64 v[110:111], v[24:25], s[40:41]
	v_add_f64 v[30:31], v[30:31], v[38:39]
	v_add_f64 v[38:39], v[40:41], v[52:53]
	v_fma_f64 v[52:53], v[26:27], s[0:1], v[114:115]
	s_mov_b32 s44, s38
	v_add_f64 v[40:41], v[58:59], v[42:43]
	v_add_f64 v[42:43], v[112:113], v[64:65]
	;; [unrolled: 1-line block ×3, first 2 shown]
	v_fma_f64 v[60:61], v[26:27], s[0:1], -v[114:115]
	v_fma_f64 v[64:65], v[26:27], s[34:35], v[110:111]
	v_mul_f64 v[106:107], v[24:25], s[44:45]
	v_add_f64 v[46:47], v[52:53], v[46:47]
	v_mul_f64 v[52:53], v[24:25], s[26:27]
	v_add_f64 v[16:17], v[20:21], -v[16:17]
	v_mul_f64 v[20:21], v[24:25], s[24:25]
	v_add_f64 v[44:45], v[118:119], v[44:45]
	v_add_f64 v[50:51], v[60:61], v[50:51]
	v_add_f64 v[36:37], v[64:65], v[36:37]
	v_fma_f64 v[24:25], v[26:27], s[6:7], v[106:107]
	v_fma_f64 v[60:61], v[26:27], s[6:7], -v[106:107]
	v_fma_f64 v[64:65], v[26:27], s[16:17], v[52:53]
	v_add_f64 v[18:19], v[18:19], v[22:23]
	v_mul_f64 v[22:23], v[16:17], s[24:25]
	v_fma_f64 v[106:107], v[26:27], s[18:19], v[20:21]
	v_fma_f64 v[20:21], v[26:27], s[18:19], -v[20:21]
	v_fma_f64 v[110:111], v[26:27], s[34:35], -v[110:111]
	;; [unrolled: 1-line block ×3, first 2 shown]
	v_add_f64 v[24:25], v[24:25], v[44:45]
	v_add_f64 v[26:27], v[60:61], v[34:35]
	;; [unrolled: 1-line block ×3, first 2 shown]
	v_mul_f64 v[44:45], v[16:17], s[50:51]
	v_fma_f64 v[60:61], v[18:19], s[18:19], v[22:23]
	v_mul_f64 v[64:65], v[16:17], s[26:27]
	v_add_f64 v[20:21], v[20:21], v[32:33]
	v_fma_f64 v[22:23], v[18:19], s[18:19], -v[22:23]
	v_mul_f64 v[32:33], v[16:17], s[30:31]
	v_add_f64 v[62:63], v[106:107], v[62:63]
	v_add_f64 v[108:109], v[108:109], v[116:117]
	v_fma_f64 v[66:67], v[18:19], s[14:15], v[44:45]
	v_fma_f64 v[44:45], v[18:19], s[14:15], -v[44:45]
	v_add_f64 v[54:55], v[60:61], v[54:55]
	v_mul_f64 v[60:61], v[16:17], s[44:45]
	v_fma_f64 v[106:107], v[18:19], s[16:17], v[64:65]
	v_fma_f64 v[64:65], v[18:19], s[16:17], -v[64:65]
	v_add_f64 v[22:23], v[22:23], v[30:31]
	v_fma_f64 v[30:31], v[18:19], s[28:29], v[32:33]
	v_add_f64 v[28:29], v[110:111], v[28:29]
	v_add_f64 v[40:41], v[44:45], v[40:41]
	v_fma_f64 v[32:33], v[18:19], s[28:29], -v[32:33]
	v_fma_f64 v[44:45], v[18:19], s[6:7], v[60:61]
	v_add_f64 v[8:9], v[12:13], -v[8:9]
	v_add_f64 v[58:59], v[64:65], v[58:59]
	v_mul_f64 v[64:65], v[16:17], s[42:43]
	v_add_f64 v[30:31], v[30:31], v[46:47]
	v_fma_f64 v[46:47], v[18:19], s[6:7], -v[60:61]
	v_mul_f64 v[60:61], v[16:17], s[40:41]
	v_mul_f64 v[12:13], v[16:17], s[36:37]
	v_add_f64 v[52:53], v[52:53], v[108:109]
	v_add_f64 v[32:33], v[32:33], v[50:51]
	;; [unrolled: 1-line block ×3, first 2 shown]
	v_fma_f64 v[16:17], v[18:19], s[8:9], v[64:65]
	v_fma_f64 v[44:45], v[18:19], s[8:9], -v[64:65]
	v_add_f64 v[28:29], v[46:47], v[28:29]
	v_fma_f64 v[46:47], v[18:19], s[34:35], v[60:61]
	v_fma_f64 v[50:51], v[18:19], s[34:35], -v[60:61]
	v_add_f64 v[10:11], v[10:11], v[14:15]
	v_mul_f64 v[14:15], v[8:9], s[30:31]
	v_fma_f64 v[60:61], v[18:19], s[0:1], v[12:13]
	v_fma_f64 v[12:13], v[18:19], s[0:1], -v[12:13]
	v_mul_f64 v[18:19], v[8:9], s[36:37]
	v_add_f64 v[16:17], v[16:17], v[24:25]
	v_add_f64 v[24:25], v[44:45], v[26:27]
	v_add_f64 v[26:27], v[46:47], v[34:35]
	v_add_f64 v[34:35], v[50:51], v[52:53]
	v_fma_f64 v[44:45], v[10:11], s[28:29], v[14:15]
	v_mul_f64 v[50:51], v[8:9], s[38:39]
	v_fma_f64 v[14:15], v[10:11], s[28:29], -v[14:15]
	v_add_f64 v[38:39], v[66:67], v[38:39]
	v_add_f64 v[12:13], v[12:13], v[20:21]
	v_fma_f64 v[20:21], v[10:11], s[0:1], v[18:19]
	v_fma_f64 v[18:19], v[10:11], s[0:1], -v[18:19]
	v_mul_f64 v[52:53], v[8:9], s[54:55]
	v_add_f64 v[44:45], v[44:45], v[54:55]
	v_mul_f64 v[54:55], v[8:9], s[26:27]
	v_add_f64 v[14:15], v[14:15], v[22:23]
	v_fma_f64 v[22:23], v[10:11], s[6:7], -v[50:51]
	v_add_f64 v[46:47], v[60:61], v[62:63]
	v_add_f64 v[20:21], v[20:21], v[38:39]
	;; [unrolled: 1-line block ×3, first 2 shown]
	v_fma_f64 v[38:39], v[10:11], s[18:19], v[52:53]
	v_fma_f64 v[40:41], v[10:11], s[18:19], -v[52:53]
	v_mul_f64 v[52:53], v[8:9], s[40:41]
	v_fma_f64 v[60:61], v[10:11], s[6:7], v[50:51]
	v_add_f64 v[22:23], v[22:23], v[58:59]
	v_mul_f64 v[58:59], v[8:9], s[48:49]
	v_fma_f64 v[50:51], v[10:11], s[16:17], v[54:55]
	v_add_f64 v[0:1], v[4:5], -v[0:1]
	v_add_f64 v[30:31], v[38:39], v[30:31]
	v_mul_f64 v[8:9], v[8:9], s[22:23]
	v_fma_f64 v[4:5], v[10:11], s[34:35], v[52:53]
	v_fma_f64 v[38:39], v[10:11], s[34:35], -v[52:53]
	v_add_f64 v[32:33], v[40:41], v[32:33]
	v_fma_f64 v[40:41], v[10:11], s[8:9], v[58:59]
	v_add_f64 v[36:37], v[50:51], v[36:37]
	v_fma_f64 v[50:51], v[10:11], s[8:9], -v[58:59]
	v_add_f64 v[2:3], v[2:3], v[6:7]
	v_mul_f64 v[6:7], v[0:1], s[40:41]
	v_add_f64 v[4:5], v[4:5], v[16:17]
	v_add_f64 v[16:17], v[38:39], v[24:25]
	v_mul_f64 v[24:25], v[0:1], s[46:47]
	v_fma_f64 v[38:39], v[10:11], s[14:15], v[8:9]
	v_add_f64 v[42:43], v[106:107], v[42:43]
	v_add_f64 v[26:27], v[40:41], v[26:27]
	v_fma_f64 v[8:9], v[10:11], s[14:15], -v[8:9]
	v_mul_f64 v[40:41], v[0:1], s[30:31]
	v_fma_f64 v[54:55], v[10:11], s[16:17], -v[54:55]
	v_add_f64 v[34:35], v[50:51], v[34:35]
	v_fma_f64 v[10:11], v[2:3], s[34:35], v[6:7]
	v_fma_f64 v[6:7], v[2:3], s[34:35], -v[6:7]
	v_fma_f64 v[50:51], v[2:3], s[16:17], v[24:25]
	v_fma_f64 v[24:25], v[2:3], s[16:17], -v[24:25]
	v_add_f64 v[38:39], v[38:39], v[46:47]
	v_mul_f64 v[46:47], v[0:1], s[48:49]
	v_add_f64 v[42:43], v[60:61], v[42:43]
	v_add_f64 v[8:9], v[8:9], v[12:13]
	v_fma_f64 v[12:13], v[2:3], s[28:29], v[40:41]
	v_add_f64 v[10:11], v[10:11], v[44:45]
	v_add_f64 v[6:7], v[6:7], v[14:15]
	;; [unrolled: 1-line block ×4, first 2 shown]
	v_fma_f64 v[20:21], v[2:3], s[28:29], -v[40:41]
	v_fma_f64 v[24:25], v[2:3], s[8:9], v[46:47]
	v_mul_f64 v[44:45], v[0:1], s[24:25]
	v_fma_f64 v[40:41], v[2:3], s[8:9], -v[46:47]
	v_mul_f64 v[46:47], v[0:1], s[36:37]
	v_add_f64 v[12:13], v[12:13], v[42:43]
	v_mul_f64 v[42:43], v[0:1], s[22:23]
	v_mul_f64 v[0:1], v[0:1], s[44:45]
	v_add_f64 v[20:21], v[20:21], v[22:23]
	v_add_f64 v[22:23], v[24:25], v[30:31]
	v_fma_f64 v[30:31], v[2:3], s[18:19], v[44:45]
	v_add_f64 v[24:25], v[40:41], v[32:33]
	v_fma_f64 v[32:33], v[2:3], s[0:1], v[46:47]
	v_fma_f64 v[40:41], v[2:3], s[0:1], -v[46:47]
	v_fma_f64 v[46:47], v[2:3], s[14:15], v[42:43]
	v_fma_f64 v[50:51], v[2:3], s[6:7], v[0:1]
	v_fma_f64 v[0:1], v[2:3], s[6:7], -v[0:1]
	v_fma_f64 v[42:43], v[2:3], s[14:15], -v[42:43]
	v_add_f64 v[28:29], v[54:55], v[28:29]
	v_fma_f64 v[2:3], v[2:3], s[18:19], -v[44:45]
	v_add_f64 v[30:31], v[30:31], v[36:37]
	v_add_f64 v[4:5], v[32:33], v[4:5]
	v_add_f64 v[26:27], v[46:47], v[26:27]
	v_add_f64 v[32:33], v[50:51], v[38:39]
	v_add_f64 v[0:1], v[0:1], v[8:9]
	v_add_f64 v[16:17], v[40:41], v[16:17]
	v_add_f64 v[8:9], v[42:43], v[34:35]
	v_add_f64 v[2:3], v[2:3], v[28:29]
	v_lshl_add_u32 v28, v104, 7, v56
	ds_write2_b64 v28, v[48:49], v[10:11] offset1:1
	ds_write2_b64 v28, v[14:15], v[12:13] offset0:2 offset1:3
	ds_write2_b64 v28, v[22:23], v[30:31] offset0:4 offset1:5
	;; [unrolled: 1-line block ×7, first 2 shown]
	ds_write_b64 v28, v[6:7] offset:128
.LBB0_15:
	s_or_b64 exec, exec, s[2:3]
	s_movk_i32 s2, 0xf1
	v_add_u32_e32 v28, 0x77, v104
	v_mul_lo_u16_sdwa v114, v104, s2 dst_sel:DWORD dst_unused:UNUSED_PAD src0_sel:BYTE_0 src1_sel:DWORD
	v_lshrrev_b16_e32 v115, 12, v114
	v_mul_lo_u16_sdwa v117, v28, s2 dst_sel:DWORD dst_unused:UNUSED_PAD src0_sel:BYTE_0 src1_sel:DWORD
	v_mul_lo_u16_e32 v0, 17, v115
	v_lshrrev_b16_e32 v118, 12, v117
	v_sub_u16_e32 v116, v104, v0
	v_mov_b32_e32 v0, 4
	v_mul_lo_u16_e32 v1, 17, v118
	v_add_u32_e32 v31, 0xee, v104
	v_lshlrev_b32_sdwa v9, v0, v116 dst_sel:DWORD dst_unused:UNUSED_PAD src0_sel:DWORD src1_sel:BYTE_0
	v_sub_u16_e32 v119, v28, v1
	s_mov_b32 s2, 0xf0f1
	s_load_dwordx2 s[0:1], s[4:5], 0x0
	s_waitcnt lgkmcnt(0)
	s_barrier
	v_lshlrev_b32_sdwa v10, v0, v119 dst_sel:DWORD dst_unused:UNUSED_PAD src0_sel:DWORD src1_sel:BYTE_0
	global_load_dwordx4 v[0:3], v9, s[12:13]
	global_load_dwordx4 v[4:7], v10, s[12:13]
	v_mul_u32_u24_sdwa v9, v31, s2 dst_sel:DWORD dst_unused:UNUSED_PAD src0_sel:WORD_0 src1_sel:DWORD
	v_lshrrev_b32_e32 v120, 20, v9
	v_add_u32_e32 v8, 0x165, v104
	v_mul_lo_u16_e32 v9, 17, v120
	v_sub_u16_e32 v121, v31, v9
	v_mul_u32_u24_sdwa v9, v8, s2 dst_sel:DWORD dst_unused:UNUSED_PAD src0_sel:WORD_0 src1_sel:DWORD
	v_lshrrev_b32_e32 v122, 20, v9
	v_mul_lo_u16_e32 v9, 17, v122
	v_add_u32_e32 v30, 0x1dc, v104
	v_lshlrev_b32_e32 v17, 4, v121
	v_sub_u16_e32 v123, v8, v9
	v_lshlrev_b32_e32 v18, 4, v123
	global_load_dwordx4 v[8:11], v17, s[12:13]
	global_load_dwordx4 v[12:15], v18, s[12:13]
	v_mul_u32_u24_sdwa v17, v30, s2 dst_sel:DWORD dst_unused:UNUSED_PAD src0_sel:WORD_0 src1_sel:DWORD
	v_lshrrev_b32_e32 v124, 20, v17
	v_add_u32_e32 v16, 0x253, v104
	v_mul_lo_u16_e32 v17, 17, v124
	v_sub_u16_e32 v125, v30, v17
	v_mul_u32_u24_sdwa v17, v16, s2 dst_sel:DWORD dst_unused:UNUSED_PAD src0_sel:WORD_0 src1_sel:DWORD
	v_lshrrev_b32_e32 v126, 20, v17
	v_mul_lo_u16_e32 v17, 17, v126
	v_add_u32_e32 v29, 0x2ca, v104
	v_lshlrev_b32_e32 v24, 4, v125
	v_sub_u16_e32 v127, v16, v17
	v_lshlrev_b32_e32 v25, 4, v127
	global_load_dwordx4 v[16:19], v24, s[12:13]
	global_load_dwordx4 v[20:23], v25, s[12:13]
	v_mul_u32_u24_sdwa v24, v29, s2 dst_sel:DWORD dst_unused:UNUSED_PAD src0_sel:WORD_0 src1_sel:DWORD
	v_lshrrev_b32_e32 v128, 20, v24
	v_mul_lo_u16_e32 v24, 17, v128
	v_sub_u16_e32 v129, v29, v24
	v_lshlrev_b32_e32 v24, 4, v129
	global_load_dwordx4 v[24:27], v24, s[12:13]
	ds_read2_b64 v[32:35], v56 offset1:119
	ds_read2_b64 v[36:39], v57 offset0:74 offset1:193
	ds_read2_b64 v[40:43], v100 offset0:56 offset1:175
	;; [unrolled: 1-line block ×6, first 2 shown]
	s_waitcnt vmcnt(0) lgkmcnt(0)
	s_barrier
	s_mov_b32 s8, 0x37e14327
	s_mov_b32 s4, 0x36b3c0b5
	;; [unrolled: 1-line block ×20, first 2 shown]
	v_mul_f64 v[62:63], v[38:39], v[2:3]
	v_mul_f64 v[2:3], v[70:71], v[2:3]
	;; [unrolled: 1-line block ×4, first 2 shown]
	v_fma_f64 v[62:63], v[70:71], v[0:1], -v[62:63]
	v_fma_f64 v[0:1], v[38:39], v[0:1], v[2:3]
	v_fma_f64 v[2:3], v[84:85], v[4:5], -v[64:65]
	v_fma_f64 v[4:5], v[40:41], v[4:5], v[6:7]
	v_mul_f64 v[66:67], v[42:43], v[10:11]
	v_mul_f64 v[10:11], v[86:87], v[10:11]
	v_mul_f64 v[106:107], v[48:49], v[14:15]
	v_mul_f64 v[14:15], v[88:89], v[14:15]
	v_add_f64 v[38:39], v[32:33], -v[0:1]
	v_add_f64 v[1:2], v[74:75], -v[2:3]
	v_add_f64 v[40:41], v[34:35], -v[4:5]
	v_mov_b32_e32 v0, 3
	v_fma_f64 v[6:7], v[86:87], v[8:9], -v[66:67]
	v_fma_f64 v[8:9], v[42:43], v[8:9], v[10:11]
	v_fma_f64 v[10:11], v[88:89], v[12:13], -v[106:107]
	v_fma_f64 v[12:13], v[48:49], v[12:13], v[14:15]
	v_mul_f64 v[108:109], v[50:51], v[18:19]
	v_mul_f64 v[18:19], v[90:91], v[18:19]
	;; [unrolled: 1-line block ×4, first 2 shown]
	v_add_f64 v[3:4], v[76:77], -v[6:7]
	v_add_f64 v[42:43], v[44:45], -v[8:9]
	v_add_f64 v[5:6], v[78:79], -v[10:11]
	v_mul_f64 v[112:113], v[60:61], v[26:27]
	v_mul_f64 v[26:27], v[94:95], v[26:27]
	v_fma_f64 v[14:15], v[90:91], v[16:17], -v[108:109]
	v_fma_f64 v[16:17], v[50:51], v[16:17], v[18:19]
	v_fma_f64 v[18:19], v[92:93], v[20:21], -v[110:111]
	v_fma_f64 v[20:21], v[58:59], v[20:21], v[22:23]
	v_add_f64 v[48:49], v[46:47], -v[12:13]
	v_fma_f64 v[64:65], v[34:35], 2.0, -v[40:41]
	v_fma_f64 v[22:23], v[94:95], v[24:25], -v[112:113]
	v_fma_f64 v[24:25], v[60:61], v[24:25], v[26:27]
	v_add_f64 v[26:27], v[72:73], -v[62:63]
	v_add_f64 v[7:8], v[80:81], -v[14:15]
	;; [unrolled: 1-line block ×4, first 2 shown]
	v_fma_f64 v[15:16], v[74:75], 2.0, -v[1:2]
	v_add_f64 v[58:59], v[54:55], -v[20:21]
	v_add_f64 v[11:12], v[68:69], -v[22:23]
	;; [unrolled: 1-line block ×3, first 2 shown]
	v_fma_f64 v[13:14], v[72:73], 2.0, -v[26:27]
	v_mul_u32_u24_e32 v25, 0x110, v115
	v_lshlrev_b32_sdwa v34, v0, v116 dst_sel:DWORD dst_unused:UNUSED_PAD src0_sel:DWORD src1_sel:BYTE_0
	v_add3_u32 v25, 0, v25, v34
	v_fma_f64 v[62:63], v[32:33], 2.0, -v[38:39]
	v_fma_f64 v[17:18], v[76:77], 2.0, -v[3:4]
	v_fma_f64 v[19:20], v[78:79], 2.0, -v[5:6]
	v_fma_f64 v[21:22], v[80:81], 2.0, -v[7:8]
	v_fma_f64 v[23:24], v[82:83], 2.0, -v[9:10]
	v_fma_f64 v[32:33], v[68:69], 2.0, -v[11:12]
	ds_write2_b64 v25, v[13:14], v[26:27] offset1:17
	v_mul_u32_u24_e32 v13, 0x110, v118
	v_lshlrev_b32_sdwa v14, v0, v119 dst_sel:DWORD dst_unused:UNUSED_PAD src0_sel:DWORD src1_sel:BYTE_0
	v_add3_u32 v26, 0, v13, v14
	v_fma_f64 v[44:45], v[44:45], 2.0, -v[42:43]
	ds_write2_b64 v26, v[15:16], v[1:2] offset1:17
	v_mul_u32_u24_e32 v1, 0x110, v120
	v_lshlrev_b32_e32 v2, 3, v121
	v_fma_f64 v[46:47], v[46:47], 2.0, -v[48:49]
	v_add3_u32 v27, 0, v1, v2
	v_mul_u32_u24_e32 v1, 0x110, v122
	v_lshlrev_b32_e32 v2, 3, v123
	v_fma_f64 v[52:53], v[52:53], 2.0, -v[50:51]
	v_add3_u32 v66, 0, v1, v2
	;; [unrolled: 4-line block ×4, first 2 shown]
	v_mul_u32_u24_e32 v1, 0x110, v128
	v_lshlrev_b32_e32 v2, 3, v129
	v_add3_u32 v69, 0, v1, v2
	ds_write2_b64 v27, v[17:18], v[3:4] offset1:17
	ds_write2_b64 v66, v[19:20], v[5:6] offset1:17
	;; [unrolled: 1-line block ×5, first 2 shown]
	s_waitcnt lgkmcnt(0)
	s_barrier
	ds_read2_b64 v[1:4], v56 offset1:119
	ds_read2_b64 v[5:8], v102 offset0:110 offset1:229
	ds_read2_b64 v[9:12], v105 offset0:92 offset1:211
	;; [unrolled: 1-line block ×6, first 2 shown]
	s_waitcnt lgkmcnt(0)
	s_barrier
	ds_write2_b64 v25, v[62:63], v[38:39] offset1:17
	ds_write2_b64 v26, v[64:65], v[40:41] offset1:17
	;; [unrolled: 1-line block ×7, first 2 shown]
	v_lshrrev_b16_e32 v27, 13, v114
	v_mul_lo_u16_e32 v25, 34, v27
	v_sub_u16_e32 v128, v104, v25
	v_mov_b32_e32 v25, 6
	v_mul_u32_u24_sdwa v26, v128, v25 dst_sel:DWORD dst_unused:UNUSED_PAD src0_sel:BYTE_0 src1_sel:DWORD
	v_lshlrev_b32_e32 v26, 4, v26
	s_waitcnt lgkmcnt(0)
	s_barrier
	global_load_dwordx4 v[36:39], v26, s[12:13] offset:272
	global_load_dwordx4 v[40:43], v26, s[12:13] offset:288
	;; [unrolled: 1-line block ×6, first 2 shown]
	v_lshrrev_b16_e32 v129, 13, v117
	v_mul_lo_u16_e32 v26, 34, v129
	v_sub_u16_e32 v130, v28, v26
	v_mul_u32_u24_sdwa v25, v130, v25 dst_sel:DWORD dst_unused:UNUSED_PAD src0_sel:BYTE_0 src1_sel:DWORD
	v_lshlrev_b32_e32 v25, 4, v25
	global_load_dwordx4 v[62:65], v25, s[12:13] offset:272
	global_load_dwordx4 v[66:69], v25, s[12:13] offset:288
	;; [unrolled: 1-line block ×6, first 2 shown]
	ds_read2_b64 v[86:89], v102 offset0:110 offset1:229
	ds_read2_b64 v[90:93], v56 offset1:119
	ds_read2_b64 v[106:109], v105 offset0:92 offset1:211
	ds_read2_b64 v[110:113], v57 offset0:74 offset1:193
	;; [unrolled: 1-line block ×5, first 2 shown]
	s_waitcnt vmcnt(0) lgkmcnt(0)
	s_barrier
	v_mul_f64 v[25:26], v[86:87], v[38:39]
	v_mul_f64 v[38:39], v[5:6], v[38:39]
	;; [unrolled: 1-line block ×6, first 2 shown]
	v_fma_f64 v[5:6], v[5:6], v[36:37], -v[25:26]
	v_fma_f64 v[25:26], v[86:87], v[36:37], v[38:39]
	v_fma_f64 v[9:10], v[9:10], v[40:41], -v[94:95]
	v_fma_f64 v[36:37], v[106:107], v[40:41], v[42:43]
	;; [unrolled: 2-line block ×3, first 2 shown]
	v_mul_f64 v[40:41], v[114:115], v[50:51]
	v_mul_f64 v[42:43], v[17:18], v[50:51]
	;; [unrolled: 1-line block ×8, first 2 shown]
	v_fma_f64 v[17:18], v[17:18], v[48:49], -v[40:41]
	v_fma_f64 v[40:41], v[114:115], v[48:49], v[42:43]
	v_fma_f64 v[21:22], v[21:22], v[58:59], -v[44:45]
	v_fma_f64 v[42:43], v[118:119], v[58:59], v[46:47]
	;; [unrolled: 2-line block ×4, first 2 shown]
	v_mul_f64 v[48:49], v[108:109], v[68:69]
	v_mul_f64 v[50:51], v[11:12], v[68:69]
	;; [unrolled: 1-line block ×8, first 2 shown]
	v_fma_f64 v[11:12], v[11:12], v[66:67], -v[48:49]
	v_fma_f64 v[48:49], v[108:109], v[66:67], v[50:51]
	v_fma_f64 v[50:51], v[112:113], v[70:71], v[54:55]
	v_fma_f64 v[23:24], v[23:24], v[78:79], -v[62:63]
	v_fma_f64 v[54:55], v[120:121], v[78:79], v[64:65]
	v_add_f64 v[62:63], v[5:6], v[32:33]
	v_add_f64 v[64:65], v[25:26], v[44:45]
	v_add_f64 v[5:6], v[5:6], -v[32:33]
	v_add_f64 v[25:26], v[25:26], -v[44:45]
	v_add_f64 v[32:33], v[9:10], v[21:22]
	v_add_f64 v[44:45], v[36:37], v[42:43]
	v_add_f64 v[9:10], v[9:10], -v[21:22]
	v_add_f64 v[21:22], v[36:37], -v[42:43]
	;; [unrolled: 4-line block ×3, first 2 shown]
	v_add_f64 v[38:39], v[32:33], v[62:63]
	v_add_f64 v[40:41], v[44:45], v[64:65]
	v_fma_f64 v[15:16], v[15:16], v[70:71], -v[52:53]
	v_fma_f64 v[19:20], v[19:20], v[74:75], -v[58:59]
	v_fma_f64 v[52:53], v[116:117], v[74:75], v[60:61]
	v_add_f64 v[66:67], v[32:33], -v[62:63]
	v_add_f64 v[68:69], v[44:45], -v[64:65]
	v_add_f64 v[62:63], v[62:63], -v[36:37]
	v_add_f64 v[64:65], v[64:65], -v[42:43]
	v_add_f64 v[32:33], v[36:37], -v[32:33]
	v_add_f64 v[44:45], v[42:43], -v[44:45]
	v_add_f64 v[70:71], v[13:14], v[9:10]
	v_add_f64 v[72:73], v[17:18], v[21:22]
	v_add_f64 v[74:75], v[13:14], -v[9:10]
	v_add_f64 v[76:77], v[17:18], -v[21:22]
	v_add_f64 v[36:37], v[36:37], v[38:39]
	v_add_f64 v[38:39], v[42:43], v[40:41]
	v_add_f64 v[9:10], v[9:10], -v[5:6]
	v_add_f64 v[21:22], v[21:22], -v[25:26]
	v_add_f64 v[13:14], v[5:6], -v[13:14]
	v_add_f64 v[17:18], v[25:26], -v[17:18]
	v_add_f64 v[5:6], v[70:71], v[5:6]
	v_add_f64 v[25:26], v[72:73], v[25:26]
	;; [unrolled: 1-line block ×4, first 2 shown]
	v_mul_f64 v[42:43], v[62:63], s[8:9]
	v_mul_f64 v[62:63], v[64:65], s[8:9]
	;; [unrolled: 1-line block ×10, first 2 shown]
	v_fma_f64 v[36:37], v[36:37], s[14:15], v[1:2]
	v_fma_f64 v[38:39], v[38:39], s[14:15], v[40:41]
	;; [unrolled: 1-line block ×4, first 2 shown]
	v_fma_f64 v[64:65], v[66:67], s[6:7], -v[64:65]
	v_fma_f64 v[70:71], v[68:69], s[6:7], -v[70:71]
	;; [unrolled: 1-line block ×4, first 2 shown]
	v_fma_f64 v[66:67], v[13:14], s[26:27], v[72:73]
	v_fma_f64 v[68:69], v[17:18], s[26:27], v[74:75]
	v_fma_f64 v[9:10], v[9:10], s[2:3], -v[72:73]
	v_fma_f64 v[21:22], v[21:22], s[2:3], -v[74:75]
	v_fma_f64 v[13:14], v[13:14], s[24:25], -v[76:77]
	v_fma_f64 v[17:18], v[17:18], s[24:25], -v[78:79]
	v_add_f64 v[32:33], v[32:33], v[36:37]
	v_add_f64 v[44:45], v[44:45], v[38:39]
	;; [unrolled: 1-line block ×6, first 2 shown]
	v_fma_f64 v[42:43], v[25:26], s[18:19], v[68:69]
	v_fma_f64 v[62:63], v[5:6], s[18:19], v[66:67]
	;; [unrolled: 1-line block ×6, first 2 shown]
	v_fma_f64 v[9:10], v[34:35], v[82:83], -v[58:59]
	v_fma_f64 v[25:26], v[124:125], v[82:83], v[60:61]
	v_add_f64 v[34:35], v[42:43], v[32:33]
	v_add_f64 v[58:59], v[44:45], -v[62:63]
	v_add_f64 v[60:61], v[17:18], v[36:37]
	v_add_f64 v[66:67], v[38:39], -v[13:14]
	v_add_f64 v[68:69], v[64:65], -v[21:22]
	v_add_f64 v[72:73], v[5:6], v[70:71]
	v_add_f64 v[21:22], v[21:22], v[64:65]
	v_add_f64 v[64:65], v[70:71], -v[5:6]
	v_add_f64 v[5:6], v[36:37], -v[17:18]
	v_add_f64 v[36:37], v[13:14], v[38:39]
	v_add_f64 v[13:14], v[7:8], v[9:10]
	;; [unrolled: 1-line block ×3, first 2 shown]
	v_add_f64 v[7:8], v[7:8], -v[9:10]
	v_add_f64 v[9:10], v[46:47], -v[25:26]
	v_add_f64 v[25:26], v[11:12], v[23:24]
	v_add_f64 v[38:39], v[48:49], v[54:55]
	v_add_f64 v[11:12], v[11:12], -v[23:24]
	v_add_f64 v[23:24], v[48:49], -v[54:55]
	v_add_f64 v[46:47], v[15:16], v[19:20]
	v_add_f64 v[48:49], v[50:51], v[52:53]
	;; [unrolled: 4-line block ×3, first 2 shown]
	v_add_f64 v[54:55], v[25:26], -v[13:14]
	v_add_f64 v[70:71], v[38:39], -v[17:18]
	;; [unrolled: 1-line block ×6, first 2 shown]
	v_add_f64 v[74:75], v[15:16], v[11:12]
	v_add_f64 v[76:77], v[19:20], v[23:24]
	v_add_f64 v[78:79], v[15:16], -v[11:12]
	v_add_f64 v[80:81], v[19:20], -v[23:24]
	v_add_f64 v[46:47], v[46:47], v[50:51]
	v_add_f64 v[23:24], v[23:24], -v[9:10]
	v_add_f64 v[48:49], v[48:49], v[52:53]
	v_add_f64 v[11:12], v[11:12], -v[7:8]
	v_add_f64 v[15:16], v[7:8], -v[15:16]
	;; [unrolled: 1-line block ×3, first 2 shown]
	v_add_f64 v[7:8], v[74:75], v[7:8]
	v_add_f64 v[9:10], v[76:77], v[9:10]
	;; [unrolled: 1-line block ×3, first 2 shown]
	v_mul_f64 v[13:14], v[13:14], s[8:9]
	v_mul_f64 v[17:18], v[17:18], s[8:9]
	;; [unrolled: 1-line block ×7, first 2 shown]
	v_add_f64 v[50:51], v[92:93], v[48:49]
	v_mul_f64 v[80:81], v[11:12], s[2:3]
	v_fma_f64 v[46:47], v[46:47], s[14:15], v[3:4]
	v_fma_f64 v[25:26], v[25:26], s[4:5], v[13:14]
	;; [unrolled: 1-line block ×3, first 2 shown]
	v_fma_f64 v[52:53], v[54:55], s[6:7], -v[52:53]
	v_fma_f64 v[74:75], v[70:71], s[6:7], -v[74:75]
	;; [unrolled: 1-line block ×4, first 2 shown]
	v_fma_f64 v[70:71], v[19:20], s[26:27], v[78:79]
	v_fma_f64 v[23:24], v[23:24], s[2:3], -v[78:79]
	v_fma_f64 v[19:20], v[19:20], s[24:25], -v[82:83]
	v_fma_f64 v[48:49], v[48:49], s[14:15], v[50:51]
	v_fma_f64 v[54:55], v[15:16], s[26:27], v[76:77]
	v_fma_f64 v[11:12], v[11:12], s[2:3], -v[76:77]
	v_fma_f64 v[15:16], v[15:16], s[24:25], -v[80:81]
	v_add_f64 v[25:26], v[25:26], v[46:47]
	v_add_f64 v[52:53], v[52:53], v[46:47]
	;; [unrolled: 1-line block ×3, first 2 shown]
	v_fma_f64 v[46:47], v[9:10], s[18:19], v[70:71]
	v_fma_f64 v[19:20], v[9:10], s[18:19], v[19:20]
	;; [unrolled: 1-line block ×3, first 2 shown]
	v_add_f64 v[38:39], v[38:39], v[48:49]
	v_add_f64 v[74:75], v[74:75], v[48:49]
	;; [unrolled: 1-line block ×3, first 2 shown]
	v_fma_f64 v[48:49], v[7:8], s[18:19], v[54:55]
	v_fma_f64 v[15:16], v[7:8], s[18:19], v[15:16]
	;; [unrolled: 1-line block ×3, first 2 shown]
	v_add_f64 v[23:24], v[46:47], v[25:26]
	v_add_f64 v[11:12], v[32:33], -v[42:43]
	v_add_f64 v[32:33], v[62:63], v[44:45]
	v_add_f64 v[44:45], v[19:20], v[13:14]
	v_add_f64 v[62:63], v[52:53], -v[9:10]
	v_add_f64 v[9:10], v[9:10], v[52:53]
	v_add_f64 v[54:55], v[17:18], -v[15:16]
	;; [unrolled: 2-line block ×3, first 2 shown]
	v_add_f64 v[7:8], v[13:14], -v[19:20]
	v_add_f64 v[13:14], v[25:26], -v[46:47]
	v_add_f64 v[74:75], v[15:16], v[17:18]
	v_mul_u32_u24_e32 v15, 0x770, v27
	v_lshlrev_b32_sdwa v16, v0, v128 dst_sel:DWORD dst_unused:UNUSED_PAD src0_sel:DWORD src1_sel:BYTE_0
	v_add3_u32 v46, 0, v15, v16
	ds_write2_b64 v46, v[1:2], v[34:35] offset1:34
	ds_write2_b64 v46, v[60:61], v[68:69] offset0:68 offset1:102
	ds_write2_b64 v46, v[21:22], v[5:6] offset0:136 offset1:170
	ds_write_b64 v46, v[11:12] offset:1632
	v_mul_u32_u24_e32 v1, 0x770, v129
	v_lshlrev_b32_sdwa v0, v0, v130 dst_sel:DWORD dst_unused:UNUSED_PAD src0_sel:DWORD src1_sel:BYTE_0
	v_add3_u32 v34, 0, v1, v0
	ds_write2_b64 v34, v[3:4], v[23:24] offset1:34
	ds_write2_b64 v34, v[44:45], v[62:63] offset0:68 offset1:102
	ds_write2_b64 v34, v[9:10], v[7:8] offset0:136 offset1:170
	ds_write_b64 v34, v[13:14] offset:1632
	s_waitcnt lgkmcnt(0)
	s_barrier
	ds_read2_b64 v[0:3], v56 offset1:119
	ds_read2_b64 v[4:7], v102 offset0:110 offset1:229
	ds_read2_b64 v[20:23], v105 offset0:92 offset1:211
	;; [unrolled: 1-line block ×6, first 2 shown]
	v_add_f64 v[42:43], v[38:39], -v[48:49]
	v_add_f64 v[38:39], v[48:49], v[38:39]
	s_waitcnt lgkmcnt(0)
	s_barrier
	ds_write2_b64 v46, v[40:41], v[58:59] offset1:34
	ds_write2_b64 v46, v[66:67], v[72:73] offset0:68 offset1:102
	ds_write2_b64 v46, v[64:65], v[36:37] offset0:136 offset1:170
	ds_write_b64 v46, v[32:33] offset:1632
	ds_write2_b64 v34, v[50:51], v[42:43] offset1:34
	ds_write2_b64 v34, v[54:55], v[70:71] offset0:68 offset1:102
	ds_write2_b64 v34, v[52:53], v[74:75] offset0:136 offset1:170
	ds_write_b64 v34, v[38:39] offset:1632
	s_waitcnt lgkmcnt(0)
	s_barrier
	s_and_saveexec_b64 s[28:29], vcc
	s_cbranch_execz .LBB0_17
; %bb.16:
	v_mul_u32_u24_e32 v32, 6, v28
	v_lshlrev_b32_e32 v57, 4, v32
	global_load_dwordx4 v[32:35], v57, s[12:13] offset:3584
	global_load_dwordx4 v[36:39], v57, s[12:13] offset:3568
	global_load_dwordx4 v[40:43], v57, s[12:13] offset:3552
	global_load_dwordx4 v[44:47], v57, s[12:13] offset:3600
	global_load_dwordx4 v[48:51], v57, s[12:13] offset:3536
	global_load_dwordx4 v[52:55], v57, s[12:13] offset:3616
	v_mul_u32_u24_e32 v57, 6, v104
	v_lshlrev_b32_e32 v81, 4, v57
	global_load_dwordx4 v[57:60], v81, s[12:13] offset:3584
	global_load_dwordx4 v[61:64], v81, s[12:13] offset:3568
	;; [unrolled: 1-line block ×6, first 2 shown]
	v_mul_lo_u32 v95, s1, v98
	v_mul_lo_u32 v102, s0, v99
	v_mad_u64_u32 v[93:94], s[0:1], s0, v98, 0
	v_add_u32_e32 v85, 0x1c00, v56
	v_add_u32_e32 v89, 0x1400, v56
	;; [unrolled: 1-line block ×6, first 2 shown]
	ds_read2_b64 v[81:84], v56 offset1:119
	ds_read2_b64 v[85:88], v85 offset0:56 offset1:175
	ds_read2_b64 v[89:92], v89 offset0:74 offset1:193
	ds_read2_b64 v[98:101], v98 offset0:92 offset1:211
	ds_read2_b64 v[105:108], v103 offset0:38 offset1:157
	ds_read2_b64 v[109:112], v109 offset0:110 offset1:229
	ds_read2_b64 v[113:116], v113 offset0:20 offset1:139
	v_add3_u32 v94, v94, v102, v95
	s_waitcnt vmcnt(11) lgkmcnt(5)
	v_mul_f64 v[102:103], v[87:88], v[34:35]
	s_waitcnt vmcnt(10) lgkmcnt(4)
	v_mul_f64 v[117:118], v[91:92], v[38:39]
	;; [unrolled: 2-line block ×6, first 2 shown]
	v_mul_f64 v[38:39], v[26:27], v[38:39]
	v_mul_f64 v[34:35], v[10:11], v[34:35]
	;; [unrolled: 1-line block ×6, first 2 shown]
	s_waitcnt vmcnt(4)
	v_mul_f64 v[129:130], v[89:90], v[63:64]
	v_fma_f64 v[22:23], v[22:23], v[40:41], -v[119:120]
	v_fma_f64 v[18:19], v[18:19], v[44:45], -v[121:122]
	;; [unrolled: 1-line block ×4, first 2 shown]
	s_waitcnt vmcnt(3)
	v_mul_f64 v[131:132], v[98:99], v[67:68]
	v_mul_f64 v[63:64], v[24:25], v[63:64]
	v_fma_f64 v[10:11], v[10:11], v[32:33], -v[102:103]
	v_fma_f64 v[26:27], v[26:27], v[36:37], -v[117:118]
	v_fma_f64 v[36:37], v[36:37], v[91:92], v[38:39]
	v_fma_f64 v[32:33], v[32:33], v[87:88], v[34:35]
	;; [unrolled: 1-line block ×6, first 2 shown]
	v_fma_f64 v[46:47], v[24:25], v[61:62], -v[129:130]
	v_add_f64 v[24:25], v[22:23], -v[18:19]
	v_add_f64 v[87:88], v[6:7], -v[14:15]
	v_add_f64 v[18:19], v[22:23], v[18:19]
	v_add_f64 v[6:7], v[6:7], v[14:15]
	v_mul_f64 v[67:68], v[20:21], v[67:68]
	v_fma_f64 v[48:49], v[20:21], v[65:66], -v[131:132]
	v_add_f64 v[20:21], v[10:11], -v[26:27]
	v_add_f64 v[91:92], v[32:33], v[36:37]
	v_add_f64 v[100:101], v[34:35], v[38:39]
	;; [unrolled: 1-line block ×5, first 2 shown]
	v_add_f64 v[14:15], v[32:33], -v[36:37]
	v_add_f64 v[22:23], v[34:35], -v[38:39]
	;; [unrolled: 1-line block ×3, first 2 shown]
	v_add_f64 v[32:33], v[20:21], v[24:25]
	v_add_f64 v[34:35], v[20:21], -v[24:25]
	v_add_f64 v[40:41], v[102:103], -v[91:92]
	v_add_f64 v[42:43], v[100:101], v[102:103]
	v_add_f64 v[107:108], v[10:11], -v[18:19]
	v_add_f64 v[111:112], v[6:7], -v[10:11]
	;; [unrolled: 3-line block ×3, first 2 shown]
	v_add_f64 v[119:120], v[14:15], -v[22:23]
	v_add_f64 v[100:101], v[100:101], -v[102:103]
	;; [unrolled: 1-line block ×3, first 2 shown]
	v_mul_f64 v[40:41], v[40:41], s[8:9]
	v_add_f64 v[42:43], v[91:92], v[42:43]
	v_mul_f64 v[91:92], v[107:108], s[4:5]
	v_mul_f64 v[102:103], v[111:112], s[8:9]
	v_add_f64 v[18:19], v[2:3], v[10:11]
	v_mul_f64 v[127:128], v[85:86], v[59:60]
	s_waitcnt vmcnt(2)
	v_mul_f64 v[133:134], v[105:106], v[71:72]
	s_waitcnt vmcnt(1)
	;; [unrolled: 2-line block ×3, first 2 shown]
	v_mul_f64 v[137:138], v[113:114], v[79:80]
	v_add_f64 v[117:118], v[14:15], v[22:23]
	v_add_f64 v[14:15], v[26:27], -v[14:15]
	v_add_f64 v[24:25], v[24:25], -v[87:88]
	;; [unrolled: 1-line block ×3, first 2 shown]
	v_add_f64 v[32:33], v[32:33], v[87:88]
	v_mul_f64 v[87:88], v[20:21], s[4:5]
	v_mul_f64 v[111:112], v[119:120], s[22:23]
	v_fma_f64 v[121:122], v[20:21], s[4:5], v[40:41]
	v_add_f64 v[20:21], v[83:84], v[42:43]
	v_fma_f64 v[83:84], v[107:108], s[4:5], v[102:103]
	v_fma_f64 v[102:103], v[6:7], s[16:17], -v[102:103]
	v_fma_f64 v[10:11], v[10:11], s[14:15], v[18:19]
	v_fma_f64 v[6:7], v[6:7], s[6:7], -v[91:92]
	v_fma_f64 v[44:45], v[8:9], v[57:58], -v[127:128]
	;; [unrolled: 1-line block ×5, first 2 shown]
	v_mul_f64 v[34:35], v[34:35], s[22:23]
	v_add_f64 v[26:27], v[117:118], v[26:27]
	v_mul_f64 v[115:116], v[24:25], s[2:3]
	v_mul_f64 v[117:118], v[22:23], s[2:3]
	v_fma_f64 v[2:3], v[14:15], s[26:27], v[111:112]
	v_fma_f64 v[22:23], v[22:23], s[2:3], -v[111:112]
	v_add_f64 v[83:84], v[83:84], v[10:11]
	v_add_f64 v[102:103], v[102:103], v[10:11]
	;; [unrolled: 1-line block ×3, first 2 shown]
	v_mul_f64 v[10:11], v[16:17], v[71:72]
	v_mul_f64 v[4:5], v[4:5], v[75:76]
	;; [unrolled: 1-line block ×3, first 2 shown]
	v_add_f64 v[36:37], v[44:45], -v[46:47]
	v_fma_f64 v[119:120], v[38:39], s[26:27], v[34:35]
	v_fma_f64 v[38:39], v[38:39], s[24:25], -v[115:116]
	v_fma_f64 v[40:41], v[100:101], s[16:17], -v[40:41]
	;; [unrolled: 1-line block ×5, first 2 shown]
	v_fma_f64 v[34:35], v[42:43], s[14:15], v[20:21]
	v_add_f64 v[107:108], v[48:49], -v[50:51]
	v_mul_f64 v[8:9], v[8:9], v[59:60]
	v_fma_f64 v[61:62], v[61:62], v[89:90], v[63:64]
	v_fma_f64 v[63:64], v[65:66], v[98:99], v[67:68]
	v_fma_f64 v[65:66], v[69:70], v[105:106], v[10:11]
	v_fma_f64 v[67:68], v[73:74], v[109:110], v[4:5]
	v_fma_f64 v[69:70], v[77:78], v[113:114], v[12:13]
	v_fma_f64 v[91:92], v[26:27], s[18:19], v[2:3]
	v_fma_f64 v[2:3], v[32:33], s[18:19], v[38:39]
	v_fma_f64 v[38:39], v[26:27], s[18:19], v[14:15]
	v_fma_f64 v[14:15], v[32:33], s[18:19], v[24:25]
	v_add_f64 v[40:41], v[40:41], v[34:35]
	v_add_f64 v[87:88], v[87:88], v[34:35]
	v_add_f64 v[16:17], v[52:53], -v[54:55]
	v_add_f64 v[59:60], v[36:37], -v[107:108]
	v_fma_f64 v[12:13], v[57:58], v[85:86], v[8:9]
	v_add_f64 v[71:72], v[63:64], v[65:66]
	v_add_f64 v[73:74], v[67:68], v[69:70]
	;; [unrolled: 1-line block ×3, first 2 shown]
	v_fma_f64 v[26:27], v[26:27], s[18:19], v[22:23]
	v_add_f64 v[34:35], v[2:3], v[40:41]
	v_add_f64 v[6:7], v[87:88], -v[14:15]
	v_add_f64 v[10:11], v[14:15], v[87:88]
	v_add_f64 v[56:57], v[36:37], v[107:108]
	v_mul_f64 v[58:59], v[59:60], s[22:23]
	v_add_f64 v[36:37], v[16:17], -v[36:37]
	v_add_f64 v[75:76], v[12:13], v[61:62]
	v_add_f64 v[48:49], v[48:49], v[50:51]
	;; [unrolled: 1-line block ×3, first 2 shown]
	v_add_f64 v[14:15], v[40:41], -v[2:3]
	v_add_f64 v[40:41], v[71:72], v[73:74]
	v_add_f64 v[44:45], v[44:45], v[46:47]
	v_fma_f64 v[42:43], v[32:33], s[18:19], v[119:120]
	v_add_f64 v[32:33], v[102:103], -v[38:39]
	v_add_f64 v[4:5], v[26:27], v[111:112]
	v_add_f64 v[8:9], v[111:112], -v[26:27]
	v_add_f64 v[26:27], v[56:57], v[16:17]
	v_fma_f64 v[2:3], v[36:37], s[26:27], v[58:59]
	v_add_f64 v[46:47], v[48:49], v[50:51]
	v_add_f64 v[54:55], v[12:13], -v[61:62]
	v_add_f64 v[56:57], v[63:64], -v[65:66]
	v_add_f64 v[12:13], v[38:39], v[102:103]
	v_add_f64 v[38:39], v[73:74], -v[75:76]
	v_add_f64 v[40:41], v[75:76], v[40:41]
	v_add_f64 v[66:67], v[67:68], -v[69:70]
	v_add_f64 v[62:63], v[50:51], -v[44:45]
	;; [unrolled: 1-line block ×3, first 2 shown]
	v_fma_f64 v[60:61], v[26:27], s[18:19], v[2:3]
	v_add_f64 v[46:47], v[44:45], v[46:47]
	v_add_f64 v[75:76], v[54:55], -v[56:57]
	v_mul_f64 v[38:39], v[38:39], s[8:9]
	v_add_f64 v[2:3], v[81:82], v[40:41]
	v_add_f64 v[68:69], v[54:55], v[56:57]
	v_add_f64 v[56:57], v[56:57], -v[66:67]
	v_add_f64 v[16:17], v[107:108], -v[16:17]
	;; [unrolled: 1-line block ×3, first 2 shown]
	v_mul_f64 v[62:63], v[62:63], s[8:9]
	v_mul_f64 v[64:65], v[52:53], s[4:5]
	v_add_f64 v[0:1], v[0:1], v[46:47]
	v_mul_f64 v[75:76], v[75:76], s[22:23]
	v_add_f64 v[54:55], v[66:67], -v[54:55]
	v_fma_f64 v[52:53], v[52:53], s[4:5], v[38:39]
	v_fma_f64 v[40:41], v[40:41], s[14:15], v[2:3]
	v_add_f64 v[70:71], v[71:72], -v[73:74]
	v_add_f64 v[48:49], v[48:49], -v[50:51]
	v_mul_f64 v[50:51], v[56:57], s[2:3]
	v_mul_f64 v[79:80], v[16:17], s[2:3]
	v_fma_f64 v[77:78], v[44:45], s[4:5], v[62:63]
	v_mul_f64 v[44:45], v[44:45], s[4:5]
	v_fma_f64 v[46:47], v[46:47], s[14:15], v[0:1]
	v_add_f64 v[66:67], v[68:69], v[66:67]
	v_fma_f64 v[68:69], v[54:55], s[26:27], v[75:76]
	v_add_f64 v[72:73], v[52:53], v[40:41]
	v_fma_f64 v[52:53], v[48:49], s[16:17], -v[62:63]
	v_fma_f64 v[50:51], v[54:55], s[24:25], -v[50:51]
	;; [unrolled: 1-line block ×8, first 2 shown]
	v_add_f64 v[64:65], v[52:53], v[46:47]
	v_fma_f64 v[68:69], v[66:67], s[18:19], v[68:69]
	v_add_f64 v[52:53], v[54:55], v[40:41]
	v_fma_f64 v[16:17], v[26:27], s[18:19], v[16:17]
	v_fma_f64 v[58:59], v[26:27], s[18:19], v[36:37]
	;; [unrolled: 1-line block ×4, first 2 shown]
	v_mad_u64_u32 v[66:67], s[0:1], s20, v104, 0
	v_add_f64 v[56:57], v[44:45], v[46:47]
	v_add_f64 v[77:78], v[77:78], v[46:47]
	v_add_f64 v[50:51], v[52:53], -v[16:17]
	v_add_f64 v[54:55], v[16:17], v[52:53]
	v_mov_b32_e32 v16, v67
	v_mad_u64_u32 v[16:17], s[0:1], s21, v104, v[16:17]
	v_add_f64 v[62:63], v[38:39], v[40:41]
	v_add_f64 v[44:45], v[64:65], -v[70:71]
	v_mov_b32_e32 v67, v16
	v_lshlrev_b64 v[16:17], 4, v[93:94]
	v_add_f64 v[48:49], v[26:27], v[56:57]
	v_add_f64 v[52:53], v[56:57], -v[26:27]
	v_add_f64 v[56:57], v[70:71], v[64:65]
	v_mov_b32_e32 v26, s11
	v_add_co_u32_e32 v64, vcc, s10, v16
	v_addc_co_u32_e32 v65, vcc, v26, v17, vcc
	v_lshlrev_b64 v[16:17], 4, v[96:97]
	v_add_f64 v[24:25], v[42:43], v[100:101]
	v_add_f64 v[38:39], v[100:101], -v[42:43]
	v_add_f64 v[42:43], v[60:61], v[72:73]
	v_add_f64 v[40:41], v[77:78], -v[68:69]
	;; [unrolled: 2-line block ×3, first 2 shown]
	v_add_f64 v[62:63], v[72:73], -v[60:61]
	v_add_f64 v[60:61], v[68:69], v[77:78]
	v_add_co_u32_e32 v68, vcc, v64, v16
	v_mad_u64_u32 v[26:27], s[0:1], s20, v31, 0
	v_addc_co_u32_e32 v69, vcc, v65, v17, vcc
	v_lshlrev_b64 v[16:17], 4, v[66:67]
	v_mad_u64_u32 v[64:65], s[0:1], s21, v31, v[27:28]
	v_add_co_u32_e32 v16, vcc, v68, v16
	v_addc_co_u32_e32 v17, vcc, v69, v17, vcc
	global_store_dwordx4 v[16:17], v[0:3], off
	v_mov_b32_e32 v27, v64
	v_mad_u64_u32 v[2:3], s[0:1], s20, v30, 0
	v_lshlrev_b64 v[0:1], 4, v[26:27]
	v_mad_u64_u32 v[26:27], s[0:1], s20, v29, 0
	v_mad_u64_u32 v[16:17], s[0:1], s21, v30, v[3:4]
	v_add_co_u32_e32 v0, vcc, v68, v0
	v_addc_co_u32_e32 v1, vcc, v69, v1, vcc
	v_mov_b32_e32 v3, v16
	global_store_dwordx4 v[0:1], v[60:63], off
	v_lshlrev_b64 v[0:1], 4, v[2:3]
	v_mov_b32_e32 v2, v27
	v_mad_u64_u32 v[2:3], s[0:1], s21, v29, v[2:3]
	v_add_u32_e32 v16, 0x3b8, v104
	v_add_co_u32_e32 v0, vcc, v68, v0
	v_mov_b32_e32 v27, v2
	v_mad_u64_u32 v[2:3], s[0:1], s20, v16, 0
	v_addc_co_u32_e32 v1, vcc, v69, v1, vcc
	v_mad_u64_u32 v[16:17], s[0:1], s21, v16, v[3:4]
	v_add_u32_e32 v17, 0x4a6, v104
	global_store_dwordx4 v[0:1], v[56:59], off
	v_lshlrev_b64 v[0:1], 4, v[26:27]
	v_mad_u64_u32 v[26:27], s[0:1], s20, v17, 0
	v_add_co_u32_e32 v0, vcc, v68, v0
	v_addc_co_u32_e32 v1, vcc, v69, v1, vcc
	v_mov_b32_e32 v3, v16
	global_store_dwordx4 v[0:1], v[52:55], off
	v_lshlrev_b64 v[0:1], 4, v[2:3]
	v_mov_b32_e32 v2, v27
	v_mad_u64_u32 v[2:3], s[0:1], s21, v17, v[2:3]
	v_add_u32_e32 v16, 0x594, v104
	v_add_co_u32_e32 v0, vcc, v68, v0
	v_mov_b32_e32 v27, v2
	v_mad_u64_u32 v[2:3], s[0:1], s20, v16, 0
	v_addc_co_u32_e32 v1, vcc, v69, v1, vcc
	s_mov_b32 s0, 0x44d72045
	global_store_dwordx4 v[0:1], v[48:51], off
	v_lshlrev_b64 v[0:1], 4, v[26:27]
	v_mul_hi_u32 v26, v28, s0
	s_movk_i32 s2, 0x594
	v_mad_u64_u32 v[16:17], s[0:1], s21, v16, v[3:4]
	v_lshrrev_b32_e32 v3, 6, v26
	v_mad_u32_u24 v28, v3, s2, v28
	v_mad_u64_u32 v[26:27], s[0:1], s20, v28, 0
	v_add_co_u32_e32 v0, vcc, v68, v0
	v_addc_co_u32_e32 v1, vcc, v69, v1, vcc
	v_mov_b32_e32 v3, v16
	global_store_dwordx4 v[0:1], v[44:47], off
	v_lshlrev_b64 v[0:1], 4, v[2:3]
	v_mov_b32_e32 v2, v27
	v_mad_u64_u32 v[2:3], s[0:1], s21, v28, v[2:3]
	v_add_u32_e32 v16, 0xee, v28
	v_add_co_u32_e32 v0, vcc, v68, v0
	v_mov_b32_e32 v27, v2
	v_mad_u64_u32 v[2:3], s[0:1], s20, v16, 0
	v_addc_co_u32_e32 v1, vcc, v69, v1, vcc
	v_mad_u64_u32 v[16:17], s[0:1], s21, v16, v[3:4]
	v_add_u32_e32 v17, 0x1dc, v28
	global_store_dwordx4 v[0:1], v[40:43], off
	v_lshlrev_b64 v[0:1], 4, v[26:27]
	v_mad_u64_u32 v[26:27], s[0:1], s20, v17, 0
	v_add_co_u32_e32 v0, vcc, v68, v0
	v_addc_co_u32_e32 v1, vcc, v69, v1, vcc
	v_mov_b32_e32 v3, v16
	global_store_dwordx4 v[0:1], v[18:21], off
	v_lshlrev_b64 v[0:1], 4, v[2:3]
	v_mov_b32_e32 v2, v27
	v_mad_u64_u32 v[2:3], s[0:1], s21, v17, v[2:3]
	v_add_f64 v[36:37], v[91:92], v[83:84]
	v_add_u32_e32 v16, 0x2ca, v28
	v_mov_b32_e32 v27, v2
	v_mad_u64_u32 v[2:3], s[0:1], s20, v16, 0
	v_add_co_u32_e32 v0, vcc, v68, v0
	v_addc_co_u32_e32 v1, vcc, v69, v1, vcc
	v_mad_u64_u32 v[16:17], s[0:1], s21, v16, v[3:4]
	v_add_u32_e32 v19, 0x3b8, v28
	global_store_dwordx4 v[0:1], v[36:39], off
	v_lshlrev_b64 v[0:1], 4, v[26:27]
	v_mad_u64_u32 v[17:18], s[0:1], s20, v19, 0
	v_add_co_u32_e32 v0, vcc, v68, v0
	v_addc_co_u32_e32 v1, vcc, v69, v1, vcc
	v_mov_b32_e32 v3, v16
	global_store_dwordx4 v[0:1], v[12:15], off
	v_lshlrev_b64 v[0:1], 4, v[2:3]
	v_mov_b32_e32 v2, v18
	v_mad_u64_u32 v[2:3], s[0:1], s21, v19, v[2:3]
	v_add_co_u32_e32 v0, vcc, v68, v0
	v_addc_co_u32_e32 v1, vcc, v69, v1, vcc
	global_store_dwordx4 v[0:1], v[8:11], off
	v_mov_b32_e32 v18, v2
	v_add_u32_e32 v8, 0x4a6, v28
	v_mad_u64_u32 v[2:3], s[0:1], s20, v8, 0
	v_add_u32_e32 v11, 0x594, v28
	v_lshlrev_b64 v[0:1], 4, v[17:18]
	v_mad_u64_u32 v[8:9], s[0:1], s21, v8, v[3:4]
	v_mad_u64_u32 v[9:10], s[0:1], s20, v11, 0
	v_add_co_u32_e32 v0, vcc, v68, v0
	v_addc_co_u32_e32 v1, vcc, v69, v1, vcc
	v_mov_b32_e32 v3, v8
	global_store_dwordx4 v[0:1], v[4:7], off
	v_lshlrev_b64 v[0:1], 4, v[2:3]
	v_mov_b32_e32 v2, v10
	v_mad_u64_u32 v[2:3], s[0:1], s21, v11, v[2:3]
	v_add_f64 v[22:23], v[83:84], -v[91:92]
	v_add_co_u32_e32 v0, vcc, v68, v0
	v_addc_co_u32_e32 v1, vcc, v69, v1, vcc
	v_mov_b32_e32 v10, v2
	global_store_dwordx4 v[0:1], v[32:35], off
	v_lshlrev_b64 v[0:1], 4, v[9:10]
	v_add_co_u32_e32 v0, vcc, v68, v0
	v_addc_co_u32_e32 v1, vcc, v69, v1, vcc
	global_store_dwordx4 v[0:1], v[22:25], off
.LBB0_17:
	s_endpgm
	.section	.rodata,"a",@progbits
	.p2align	6, 0x0
	.amdhsa_kernel fft_rtc_fwd_len1666_factors_17_2_7_7_wgs_119_tpt_119_halfLds_dp_op_CI_CI_sbrr_dirReg
		.amdhsa_group_segment_fixed_size 0
		.amdhsa_private_segment_fixed_size 0
		.amdhsa_kernarg_size 104
		.amdhsa_user_sgpr_count 6
		.amdhsa_user_sgpr_private_segment_buffer 1
		.amdhsa_user_sgpr_dispatch_ptr 0
		.amdhsa_user_sgpr_queue_ptr 0
		.amdhsa_user_sgpr_kernarg_segment_ptr 1
		.amdhsa_user_sgpr_dispatch_id 0
		.amdhsa_user_sgpr_flat_scratch_init 0
		.amdhsa_user_sgpr_private_segment_size 0
		.amdhsa_uses_dynamic_stack 0
		.amdhsa_system_sgpr_private_segment_wavefront_offset 0
		.amdhsa_system_sgpr_workgroup_id_x 1
		.amdhsa_system_sgpr_workgroup_id_y 0
		.amdhsa_system_sgpr_workgroup_id_z 0
		.amdhsa_system_sgpr_workgroup_info 0
		.amdhsa_system_vgpr_workitem_id 0
		.amdhsa_next_free_vgpr 238
		.amdhsa_next_free_sgpr 58
		.amdhsa_reserve_vcc 1
		.amdhsa_reserve_flat_scratch 0
		.amdhsa_float_round_mode_32 0
		.amdhsa_float_round_mode_16_64 0
		.amdhsa_float_denorm_mode_32 3
		.amdhsa_float_denorm_mode_16_64 3
		.amdhsa_dx10_clamp 1
		.amdhsa_ieee_mode 1
		.amdhsa_fp16_overflow 0
		.amdhsa_exception_fp_ieee_invalid_op 0
		.amdhsa_exception_fp_denorm_src 0
		.amdhsa_exception_fp_ieee_div_zero 0
		.amdhsa_exception_fp_ieee_overflow 0
		.amdhsa_exception_fp_ieee_underflow 0
		.amdhsa_exception_fp_ieee_inexact 0
		.amdhsa_exception_int_div_zero 0
	.end_amdhsa_kernel
	.text
.Lfunc_end0:
	.size	fft_rtc_fwd_len1666_factors_17_2_7_7_wgs_119_tpt_119_halfLds_dp_op_CI_CI_sbrr_dirReg, .Lfunc_end0-fft_rtc_fwd_len1666_factors_17_2_7_7_wgs_119_tpt_119_halfLds_dp_op_CI_CI_sbrr_dirReg
                                        ; -- End function
	.section	.AMDGPU.csdata,"",@progbits
; Kernel info:
; codeLenInByte = 15208
; NumSgprs: 62
; NumVgprs: 238
; ScratchSize: 0
; MemoryBound: 1
; FloatMode: 240
; IeeeMode: 1
; LDSByteSize: 0 bytes/workgroup (compile time only)
; SGPRBlocks: 7
; VGPRBlocks: 59
; NumSGPRsForWavesPerEU: 62
; NumVGPRsForWavesPerEU: 238
; Occupancy: 1
; WaveLimiterHint : 1
; COMPUTE_PGM_RSRC2:SCRATCH_EN: 0
; COMPUTE_PGM_RSRC2:USER_SGPR: 6
; COMPUTE_PGM_RSRC2:TRAP_HANDLER: 0
; COMPUTE_PGM_RSRC2:TGID_X_EN: 1
; COMPUTE_PGM_RSRC2:TGID_Y_EN: 0
; COMPUTE_PGM_RSRC2:TGID_Z_EN: 0
; COMPUTE_PGM_RSRC2:TIDIG_COMP_CNT: 0
	.type	__hip_cuid_572b855a2b027a4,@object ; @__hip_cuid_572b855a2b027a4
	.section	.bss,"aw",@nobits
	.globl	__hip_cuid_572b855a2b027a4
__hip_cuid_572b855a2b027a4:
	.byte	0                               ; 0x0
	.size	__hip_cuid_572b855a2b027a4, 1

	.ident	"AMD clang version 19.0.0git (https://github.com/RadeonOpenCompute/llvm-project roc-6.4.0 25133 c7fe45cf4b819c5991fe208aaa96edf142730f1d)"
	.section	".note.GNU-stack","",@progbits
	.addrsig
	.addrsig_sym __hip_cuid_572b855a2b027a4
	.amdgpu_metadata
---
amdhsa.kernels:
  - .args:
      - .actual_access:  read_only
        .address_space:  global
        .offset:         0
        .size:           8
        .value_kind:     global_buffer
      - .offset:         8
        .size:           8
        .value_kind:     by_value
      - .actual_access:  read_only
        .address_space:  global
        .offset:         16
        .size:           8
        .value_kind:     global_buffer
      - .actual_access:  read_only
        .address_space:  global
        .offset:         24
        .size:           8
        .value_kind:     global_buffer
      - .actual_access:  read_only
        .address_space:  global
        .offset:         32
        .size:           8
        .value_kind:     global_buffer
      - .offset:         40
        .size:           8
        .value_kind:     by_value
      - .actual_access:  read_only
        .address_space:  global
        .offset:         48
        .size:           8
        .value_kind:     global_buffer
      - .actual_access:  read_only
        .address_space:  global
        .offset:         56
        .size:           8
        .value_kind:     global_buffer
      - .offset:         64
        .size:           4
        .value_kind:     by_value
      - .actual_access:  read_only
        .address_space:  global
        .offset:         72
        .size:           8
        .value_kind:     global_buffer
      - .actual_access:  read_only
        .address_space:  global
        .offset:         80
        .size:           8
        .value_kind:     global_buffer
      - .actual_access:  read_only
        .address_space:  global
        .offset:         88
        .size:           8
        .value_kind:     global_buffer
      - .actual_access:  write_only
        .address_space:  global
        .offset:         96
        .size:           8
        .value_kind:     global_buffer
    .group_segment_fixed_size: 0
    .kernarg_segment_align: 8
    .kernarg_segment_size: 104
    .language:       OpenCL C
    .language_version:
      - 2
      - 0
    .max_flat_workgroup_size: 119
    .name:           fft_rtc_fwd_len1666_factors_17_2_7_7_wgs_119_tpt_119_halfLds_dp_op_CI_CI_sbrr_dirReg
    .private_segment_fixed_size: 0
    .sgpr_count:     62
    .sgpr_spill_count: 0
    .symbol:         fft_rtc_fwd_len1666_factors_17_2_7_7_wgs_119_tpt_119_halfLds_dp_op_CI_CI_sbrr_dirReg.kd
    .uniform_work_group_size: 1
    .uses_dynamic_stack: false
    .vgpr_count:     238
    .vgpr_spill_count: 0
    .wavefront_size: 64
amdhsa.target:   amdgcn-amd-amdhsa--gfx906
amdhsa.version:
  - 1
  - 2
...

	.end_amdgpu_metadata
